;; amdgpu-corpus repo=ROCm/rocFFT kind=compiled arch=gfx906 opt=O3
	.text
	.amdgcn_target "amdgcn-amd-amdhsa--gfx906"
	.amdhsa_code_object_version 6
	.protected	bluestein_single_back_len910_dim1_half_op_CI_CI ; -- Begin function bluestein_single_back_len910_dim1_half_op_CI_CI
	.globl	bluestein_single_back_len910_dim1_half_op_CI_CI
	.p2align	8
	.type	bluestein_single_back_len910_dim1_half_op_CI_CI,@function
bluestein_single_back_len910_dim1_half_op_CI_CI: ; @bluestein_single_back_len910_dim1_half_op_CI_CI
; %bb.0:
	s_load_dwordx4 s[0:3], s[4:5], 0x28
	v_mul_u32_u24_e32 v1, 0x2d1, v0
	v_lshrrev_b32_e32 v1, 16, v1
	v_lshl_add_u32 v16, s6, 1, v1
	v_mov_b32_e32 v17, 0
	s_waitcnt lgkmcnt(0)
	v_cmp_gt_u64_e32 vcc, s[0:1], v[16:17]
	s_and_saveexec_b64 s[0:1], vcc
	s_cbranch_execz .LBB0_23
; %bb.1:
	s_load_dwordx2 s[6:7], s[4:5], 0x0
	s_load_dwordx2 s[12:13], s[4:5], 0x38
	v_mul_lo_u16_e32 v2, 0x5b, v1
	v_sub_u16_e32 v38, v0, v2
	v_and_b32_e32 v0, 1, v1
	v_mov_b32_e32 v1, 0x38e
	v_cmp_eq_u32_e32 vcc, 1, v0
	v_cndmask_b32_e32 v27, 0, v1, vcc
	s_movk_i32 s0, 0x46
	v_cmp_gt_u16_e64 s[0:1], s0, v38
	v_lshlrev_b32_e32 v37, 2, v38
	v_lshlrev_b32_e32 v40, 2, v27
	s_and_saveexec_b64 s[14:15], s[0:1]
	s_cbranch_execz .LBB0_3
; %bb.2:
	s_load_dwordx2 s[8:9], s[4:5], 0x18
	s_waitcnt lgkmcnt(0)
	s_load_dwordx4 s[8:11], s[8:9], 0x0
	s_waitcnt lgkmcnt(0)
	v_mad_u64_u32 v[0:1], s[16:17], s10, v16, 0
	v_mad_u64_u32 v[2:3], s[16:17], s8, v38, 0
	v_mad_u64_u32 v[4:5], s[10:11], s11, v16, v[1:2]
	v_mad_u64_u32 v[5:6], s[10:11], s9, v38, v[3:4]
	v_mov_b32_e32 v1, v4
	v_lshlrev_b64 v[0:1], 2, v[0:1]
	v_mov_b32_e32 v3, v5
	v_mov_b32_e32 v6, s3
	v_lshlrev_b64 v[2:3], 2, v[2:3]
	v_add_co_u32_e32 v0, vcc, s2, v0
	v_addc_co_u32_e32 v1, vcc, v6, v1, vcc
	v_add_co_u32_e32 v0, vcc, v0, v2
	v_addc_co_u32_e32 v1, vcc, v1, v3, vcc
	global_load_dword v2, v[0:1], off
	global_load_dword v3, v37, s[6:7]
	global_load_dword v4, v37, s[6:7] offset:280
	global_load_dword v5, v37, s[6:7] offset:560
	;; [unrolled: 1-line block ×7, first 2 shown]
	s_mul_i32 s2, s9, 0x118
	s_mul_hi_u32 s3, s8, 0x118
	s_mulk_i32 s8, 0x118
	s_add_i32 s2, s3, s2
	v_mov_b32_e32 v11, s2
	v_add_co_u32_e32 v0, vcc, s8, v0
	v_addc_co_u32_e32 v1, vcc, v1, v11, vcc
	global_load_dword v11, v[0:1], off
	v_mov_b32_e32 v12, s2
	v_add_co_u32_e32 v0, vcc, s8, v0
	v_addc_co_u32_e32 v1, vcc, v1, v12, vcc
	global_load_dword v12, v[0:1], off
	;; [unrolled: 4-line block ×4, first 2 shown]
	global_load_dword v15, v37, s[6:7] offset:2240
	global_load_dword v17, v37, s[6:7] offset:2520
	;; [unrolled: 1-line block ×3, first 2 shown]
	v_mov_b32_e32 v19, s2
	v_add_co_u32_e32 v0, vcc, s8, v0
	v_addc_co_u32_e32 v1, vcc, v1, v19, vcc
	global_load_dword v19, v[0:1], off
	v_mov_b32_e32 v20, s2
	v_add_co_u32_e32 v0, vcc, s8, v0
	v_addc_co_u32_e32 v1, vcc, v1, v20, vcc
	global_load_dword v20, v[0:1], off
	;; [unrolled: 4-line block ×6, first 2 shown]
	v_mov_b32_e32 v25, s2
	v_add_co_u32_e32 v0, vcc, s8, v0
	v_addc_co_u32_e32 v1, vcc, v1, v25, vcc
	s_waitcnt vmcnt(21)
	v_lshrrev_b32_e32 v26, 16, v2
	s_waitcnt vmcnt(20)
	v_mul_f16_sdwa v28, v3, v2 dst_sel:DWORD dst_unused:UNUSED_PAD src0_sel:WORD_1 src1_sel:DWORD
	v_fma_f16 v28, v3, v26, -v28
	v_mul_f16_sdwa v26, v3, v26 dst_sel:DWORD dst_unused:UNUSED_PAD src0_sel:WORD_1 src1_sel:DWORD
	v_fma_f16 v2, v3, v2, v26
	global_load_dword v25, v[0:1], off
	global_load_dword v26, v37, s[6:7] offset:3080
	v_mov_b32_e32 v3, s2
	v_add_co_u32_e32 v0, vcc, s8, v0
	v_addc_co_u32_e32 v1, vcc, v1, v3, vcc
	global_load_dword v29, v[0:1], off
	global_load_dword v30, v37, s[6:7] offset:3360
	v_lshl_add_u32 v3, v38, 2, v40
	v_pack_b32_f16 v0, v2, v28
	ds_write_b32 v3, v0
	v_add_u32_e32 v2, v40, v37
	s_waitcnt vmcnt(16)
	v_lshrrev_b32_e32 v0, 16, v11
	v_mul_f16_sdwa v1, v4, v0 dst_sel:DWORD dst_unused:UNUSED_PAD src0_sel:WORD_1 src1_sel:DWORD
	v_mul_f16_sdwa v3, v4, v11 dst_sel:DWORD dst_unused:UNUSED_PAD src0_sel:WORD_1 src1_sel:DWORD
	v_fma_f16 v1, v4, v11, v1
	v_fma_f16 v0, v4, v0, -v3
	v_pack_b32_f16 v0, v1, v0
	s_waitcnt vmcnt(15)
	v_lshrrev_b32_e32 v1, 16, v12
	v_mul_f16_sdwa v3, v5, v1 dst_sel:DWORD dst_unused:UNUSED_PAD src0_sel:WORD_1 src1_sel:DWORD
	v_mul_f16_sdwa v4, v5, v12 dst_sel:DWORD dst_unused:UNUSED_PAD src0_sel:WORD_1 src1_sel:DWORD
	v_fma_f16 v3, v5, v12, v3
	v_fma_f16 v1, v5, v1, -v4
	v_pack_b32_f16 v1, v3, v1
	ds_write2_b32 v2, v0, v1 offset0:70 offset1:140
	s_waitcnt vmcnt(14)
	v_lshrrev_b32_e32 v0, 16, v13
	v_mul_f16_sdwa v1, v6, v0 dst_sel:DWORD dst_unused:UNUSED_PAD src0_sel:WORD_1 src1_sel:DWORD
	v_mul_f16_sdwa v3, v6, v13 dst_sel:DWORD dst_unused:UNUSED_PAD src0_sel:WORD_1 src1_sel:DWORD
	v_fma_f16 v1, v6, v13, v1
	v_fma_f16 v0, v6, v0, -v3
	v_pack_b32_f16 v0, v1, v0
	s_waitcnt vmcnt(13)
	v_lshrrev_b32_e32 v1, 16, v14
	v_mul_f16_sdwa v3, v7, v1 dst_sel:DWORD dst_unused:UNUSED_PAD src0_sel:WORD_1 src1_sel:DWORD
	v_mul_f16_sdwa v4, v7, v14 dst_sel:DWORD dst_unused:UNUSED_PAD src0_sel:WORD_1 src1_sel:DWORD
	v_fma_f16 v3, v7, v14, v3
	v_fma_f16 v1, v7, v1, -v4
	v_pack_b32_f16 v1, v3, v1
	v_add_u32_e32 v3, 0x200, v2
	ds_write2_b32 v3, v0, v1 offset0:82 offset1:152
	s_waitcnt vmcnt(9)
	v_lshrrev_b32_e32 v0, 16, v19
	v_mul_f16_sdwa v1, v8, v0 dst_sel:DWORD dst_unused:UNUSED_PAD src0_sel:WORD_1 src1_sel:DWORD
	v_mul_f16_sdwa v3, v8, v19 dst_sel:DWORD dst_unused:UNUSED_PAD src0_sel:WORD_1 src1_sel:DWORD
	v_fma_f16 v1, v8, v19, v1
	v_fma_f16 v0, v8, v0, -v3
	v_pack_b32_f16 v0, v1, v0
	s_waitcnt vmcnt(8)
	v_lshrrev_b32_e32 v1, 16, v20
	v_mul_f16_sdwa v3, v9, v1 dst_sel:DWORD dst_unused:UNUSED_PAD src0_sel:WORD_1 src1_sel:DWORD
	v_mul_f16_sdwa v4, v9, v20 dst_sel:DWORD dst_unused:UNUSED_PAD src0_sel:WORD_1 src1_sel:DWORD
	v_fma_f16 v3, v9, v20, v3
	v_fma_f16 v1, v9, v1, -v4
	v_pack_b32_f16 v1, v3, v1
	v_add_u32_e32 v3, 0x400, v2
	;; [unrolled: 16-line block ×4, first 2 shown]
	ds_write2_b32 v3, v0, v1 offset0:118 offset1:188
	s_waitcnt vmcnt(3)
	v_lshrrev_b32_e32 v0, 16, v25
	s_waitcnt vmcnt(2)
	v_mul_f16_sdwa v1, v26, v0 dst_sel:DWORD dst_unused:UNUSED_PAD src0_sel:WORD_1 src1_sel:DWORD
	v_mul_f16_sdwa v3, v26, v25 dst_sel:DWORD dst_unused:UNUSED_PAD src0_sel:WORD_1 src1_sel:DWORD
	v_fma_f16 v1, v26, v25, v1
	v_fma_f16 v0, v26, v0, -v3
	v_pack_b32_f16 v0, v1, v0
	s_waitcnt vmcnt(1)
	v_lshrrev_b32_e32 v1, 16, v29
	s_waitcnt vmcnt(0)
	v_mul_f16_sdwa v3, v30, v1 dst_sel:DWORD dst_unused:UNUSED_PAD src0_sel:WORD_1 src1_sel:DWORD
	v_mul_f16_sdwa v4, v30, v29 dst_sel:DWORD dst_unused:UNUSED_PAD src0_sel:WORD_1 src1_sel:DWORD
	v_fma_f16 v3, v30, v29, v3
	v_fma_f16 v1, v30, v1, -v4
	v_pack_b32_f16 v1, v3, v1
	v_add_u32_e32 v2, 0xc00, v2
	ds_write2_b32 v2, v0, v1 offset0:2 offset1:72
.LBB0_3:
	s_or_b64 exec, exec, s[14:15]
	s_load_dwordx2 s[2:3], s[4:5], 0x20
	s_load_dwordx2 s[14:15], s[4:5], 0x8
	v_mov_b32_e32 v0, 0
	s_waitcnt lgkmcnt(0)
	s_barrier
	s_waitcnt lgkmcnt(0)
                                        ; implicit-def: $vgpr10
                                        ; implicit-def: $vgpr7
                                        ; implicit-def: $vgpr5
                                        ; implicit-def: $vgpr3
                                        ; implicit-def: $vgpr15
                                        ; implicit-def: $vgpr13
	s_and_saveexec_b64 s[4:5], s[0:1]
	s_cbranch_execz .LBB0_5
; %bb.4:
	v_lshl_add_u32 v8, v27, 2, v37
	v_add_u32_e32 v2, 0x400, v8
	v_add_u32_e32 v4, 0x800, v8
	;; [unrolled: 1-line block ×3, first 2 shown]
	ds_read2_b32 v[0:1], v8 offset1:70
	ds_read2_b32 v[12:13], v8 offset0:140 offset1:210
	ds_read2_b32 v[14:15], v2 offset0:24 offset1:94
	;; [unrolled: 1-line block ×5, first 2 shown]
	ds_read_b32 v10, v8 offset:3360
.LBB0_5:
	s_or_b64 exec, exec, s[4:5]
	s_waitcnt lgkmcnt(0)
	v_pk_add_f16 v18, v10, v1
	v_pk_add_f16 v17, v1, v10 neg_lo:[0,1] neg_hi:[0,1]
	v_lshrrev_b32_e32 v36, 16, v18
	s_movk_i32 s10, 0x2fb7
	v_mul_f16_e32 v47, 0xbbf1, v17
	s_mov_b32 s25, 0xb770
	v_fma_f16 v19, v36, s10, -v47
	s_movk_i32 s8, 0x3b15
	v_mul_f16_sdwa v22, v17, s25 dst_sel:DWORD dst_unused:UNUSED_PAD src0_sel:WORD_1 src1_sel:DWORD
	s_mov_b32 s24, 0xba95
	v_add_f16_sdwa v21, v19, v0 dst_sel:DWORD dst_unused:UNUSED_PAD src0_sel:DWORD src1_sel:WORD_1
	v_pk_add_f16 v19, v12, v7 neg_lo:[0,1] neg_hi:[0,1]
	v_fma_f16 v8, v18, s8, v22
	s_movk_i32 s9, 0x388b
	v_mul_f16_e32 v31, 0xba95, v17
	s_mov_b32 s22, 0xbbf1
	v_pk_add_f16 v20, v7, v12
	v_mul_f16_sdwa v25, v19, s24 dst_sel:DWORD dst_unused:UNUSED_PAD src0_sel:WORD_1 src1_sel:DWORD
	v_add_f16_e32 v8, v8, v0
	v_fma_f16 v9, v36, s9, -v31
	v_mul_f16_sdwa v42, v17, s22 dst_sel:DWORD dst_unused:UNUSED_PAD src0_sel:WORD_1 src1_sel:DWORD
	v_fma_f16 v23, v20, s9, v25
	v_lshrrev_b32_e32 v44, 16, v20
	s_mov_b32 s11, 0xb5ac
	v_mul_f16_e32 v39, 0xbb7b, v19
	s_mov_b32 s16, 0xb3a8
	v_add_f16_sdwa v9, v9, v0 dst_sel:DWORD dst_unused:UNUSED_PAD src0_sel:DWORD src1_sel:WORD_1
	v_fma_f16 v11, v18, s10, v42
	v_add_f16_e32 v8, v23, v8
	v_fma_f16 v23, v44, s11, -v39
	s_mov_b32 s17, 0xbbc4
	v_mul_f16_sdwa v49, v19, s16 dst_sel:DWORD dst_unused:UNUSED_PAD src0_sel:WORD_1 src1_sel:DWORD
	v_add_f16_e32 v11, v11, v0
	v_add_f16_e32 v9, v23, v9
	v_fma_f16 v23, v20, s17, v49
	v_mul_f16_e32 v54, 0xb3a8, v19
	v_add_f16_e32 v11, v23, v11
	v_fma_f16 v23, v44, s17, -v54
	v_add_f16_e32 v24, v23, v21
	v_pk_add_f16 v21, v13, v6 neg_lo:[0,1] neg_hi:[0,1]
	v_pk_add_f16 v23, v6, v13
	v_mul_f16_sdwa v33, v21, s22 dst_sel:DWORD dst_unused:UNUSED_PAD src0_sel:WORD_1 src1_sel:DWORD
	v_fma_f16 v26, v23, s10, v33
	v_lshrrev_b32_e32 v48, 16, v23
	v_mul_f16_e32 v45, 0xb3a8, v21
	s_movk_i32 s26, 0x3b7b
	v_add_f16_e32 v8, v26, v8
	v_fma_f16 v26, v48, s17, -v45
	v_mul_f16_sdwa v52, v21, s26 dst_sel:DWORD dst_unused:UNUSED_PAD src0_sel:WORD_1 src1_sel:DWORD
	v_add_f16_e32 v9, v26, v9
	v_fma_f16 v26, v23, s11, v52
	v_mul_f16_e32 v58, 0x3b7b, v21
	v_add_f16_e32 v11, v26, v11
	v_fma_f16 v26, v48, s11, -v58
	v_add_f16_e32 v28, v26, v24
	s_mov_b32 s18, 0xbb7b
	v_pk_add_f16 v24, v14, v5 neg_lo:[0,1] neg_hi:[0,1]
	v_pk_add_f16 v26, v5, v14
	v_mul_f16_sdwa v43, v24, s18 dst_sel:DWORD dst_unused:UNUSED_PAD src0_sel:WORD_1 src1_sel:DWORD
	v_fma_f16 v29, v26, s11, v43
	s_mov_b32 s20, 0xb9fd
	v_lshrrev_b32_e32 v53, 16, v26
	v_mul_f16_e32 v51, 0x394e, v24
	s_movk_i32 s19, 0x3770
	v_add_f16_e32 v8, v29, v8
	v_fma_f16 v29, v53, s20, -v51
	v_mul_f16_sdwa v57, v24, s19 dst_sel:DWORD dst_unused:UNUSED_PAD src0_sel:WORD_1 src1_sel:DWORD
	v_add_f16_e32 v9, v29, v9
	v_fma_f16 v29, v26, s8, v57
	v_mul_f16_e32 v63, 0x3770, v24
	s_mov_b32 s21, 0xb94e
	v_pk_add_f16 v32, v15, v4 neg_lo:[0,1] neg_hi:[0,1]
	v_add_f16_e32 v11, v29, v11
	v_fma_f16 v29, v53, s8, -v63
	v_pk_add_f16 v34, v4, v15
	v_mul_f16_sdwa v50, v32, s21 dst_sel:DWORD dst_unused:UNUSED_PAD src0_sel:WORD_1 src1_sel:DWORD
	v_add_f16_e32 v28, v29, v28
	v_fma_f16 v29, v34, s20, v50
	v_lshrrev_b32_e32 v59, 16, v34
	v_mul_f16_e32 v55, 0x3bf1, v32
	v_add_f16_e32 v8, v29, v8
	v_fma_f16 v29, v59, s10, -v55
	v_mul_f16_sdwa v61, v32, s24 dst_sel:DWORD dst_unused:UNUSED_PAD src0_sel:WORD_1 src1_sel:DWORD
	v_add_f16_e32 v29, v29, v9
	v_fma_f16 v9, v34, s9, v61
	v_mul_f16_e32 v68, 0xba95, v32
	v_pk_add_f16 v46, v3, v2
	v_pk_add_f16 v41, v2, v3 neg_lo:[0,1] neg_hi:[0,1]
	v_add_f16_e32 v11, v9, v11
	v_fma_f16 v9, v59, s9, -v68
	s_mov_b32 s4, 0x3b15388b
	v_lshrrev_b32_e32 v76, 16, v46
	v_mul_f16_e32 v69, 0x3770, v41
	v_add_f16_e32 v30, v9, v28
	s_mov_b32 s5, 0xba95b770
	s_mov_b32 s23, 0x388bb5ac
	v_mul_f16_sdwa v56, v41, s16 dst_sel:DWORD dst_unused:UNUSED_PAD src0_sel:WORD_1 src1_sel:DWORD
	v_pk_mul_f16 v35, v18, s4
	v_fma_f16 v28, v76, s8, -v69
	v_mul_f16_e32 v78, 0xb94e, v41
	s_mov_b32 s27, 0xbb7bba95
	s_mov_b32 s28, 0x2fb7bbc4
	v_fma_f16 v9, v46, s17, v56
	v_pk_fma_f16 v60, v17, s5, v35 op_sel:[0,0,1] op_sel_hi:[1,1,0]
	v_pk_mul_f16 v71, v20, s23
	v_add_f16_e32 v28, v28, v29
	v_fma_f16 v29, v76, s20, -v78
	v_pk_fma_f16 v70, v17, s5, v35 op_sel:[0,0,1] op_sel_hi:[1,1,0] neg_lo:[1,0,0] neg_hi:[1,0,0]
	s_mov_b32 s29, 0xb3a8bbf1
	s_mov_b32 s30, 0xb5acb9fd
	v_add_f16_e32 v9, v9, v8
	v_pk_fma_f16 v62, v19, s27, v71 op_sel:[0,0,1] op_sel_hi:[1,1,0]
	v_add_f16_sdwa v8, v60, v0 dst_sel:DWORD dst_unused:UNUSED_PAD src0_sel:WORD_1 src1_sel:DWORD
	v_pk_mul_f16 v72, v23, s28
	v_add_f16_e32 v29, v29, v30
	v_pk_fma_f16 v71, v19, s27, v71 op_sel:[0,0,1] op_sel_hi:[1,1,0] neg_lo:[1,0,0] neg_hi:[1,0,0]
	v_add_f16_sdwa v30, v70, v0 dst_sel:DWORD dst_unused:UNUSED_PAD src0_sel:DWORD src1_sel:WORD_1
	s_mov_b32 s31, 0x394ebb7b
	s_mov_b32 s33, 0xb9fd2fb7
	v_add_f16_sdwa v8, v62, v8 dst_sel:DWORD dst_unused:UNUSED_PAD src0_sel:WORD_1 src1_sel:DWORD
	v_pk_fma_f16 v64, v21, s29, v72 op_sel:[0,0,1] op_sel_hi:[1,1,0]
	v_pk_mul_f16 v73, v26, s30
	v_pk_fma_f16 v72, v21, s29, v72 op_sel:[0,0,1] op_sel_hi:[1,1,0] neg_lo:[1,0,0] neg_hi:[1,0,0]
	v_add_f16_e32 v30, v71, v30
	s_mov_b32 s34, 0x3bf1b94e
	s_mov_b32 s35, 0xbbc43b15
	v_add_f16_sdwa v8, v64, v8 dst_sel:DWORD dst_unused:UNUSED_PAD src0_sel:WORD_1 src1_sel:DWORD
	v_pk_fma_f16 v65, v24, s31, v73 op_sel:[0,0,1] op_sel_hi:[1,1,0]
	v_pk_mul_f16 v74, v34, s33
	v_pk_fma_f16 v73, v24, s31, v73 op_sel:[0,0,1] op_sel_hi:[1,1,0] neg_lo:[1,0,0] neg_hi:[1,0,0]
	v_add_f16_e32 v30, v72, v30
	s_mov_b32 s36, 0x3770b3a8
	v_add_f16_sdwa v8, v65, v8 dst_sel:DWORD dst_unused:UNUSED_PAD src0_sel:WORD_1 src1_sel:DWORD
	v_pk_fma_f16 v66, v32, s34, v74 op_sel:[0,0,1] op_sel_hi:[1,1,0]
	v_pk_mul_f16 v75, v46, s35
	v_pk_fma_f16 v74, v32, s34, v74 op_sel:[0,0,1] op_sel_hi:[1,1,0] neg_lo:[1,0,0] neg_hi:[1,0,0]
	v_add_f16_e32 v30, v73, v30
	v_mul_f16_sdwa v77, v41, s21 dst_sel:DWORD dst_unused:UNUSED_PAD src0_sel:WORD_1 src1_sel:DWORD
	v_add_f16_sdwa v8, v66, v8 dst_sel:DWORD dst_unused:UNUSED_PAD src0_sel:WORD_1 src1_sel:DWORD
	v_pk_fma_f16 v67, v41, s36, v75 op_sel:[0,0,1] op_sel_hi:[1,1,0]
	v_pk_fma_f16 v75, v41, s36, v75 op_sel:[0,0,1] op_sel_hi:[1,1,0] neg_lo:[1,0,0] neg_hi:[1,0,0]
	v_add_f16_e32 v30, v74, v30
	v_fma_f16 v35, v46, s20, v77
	v_add_f16_sdwa v8, v67, v8 dst_sel:DWORD dst_unused:UNUSED_PAD src0_sel:WORD_1 src1_sel:DWORD
	s_movk_i32 s28, 0x394e
	s_movk_i32 s23, 0x3bf1
	v_add_f16_e32 v30, v75, v30
	v_add_f16_e32 v11, v35, v11
	v_mul_lo_u16_e32 v35, 13, v38
	s_barrier
	s_and_saveexec_b64 s[4:5], s[0:1]
	s_cbranch_execz .LBB0_7
; %bb.6:
	v_mul_f16_e32 v79, 0xb5ac, v36
	v_fma_f16 v80, v17, s26, v79
	v_mul_f16_e32 v81, 0xb9fd, v44
	v_add_f16_sdwa v80, v80, v0 dst_sel:DWORD dst_unused:UNUSED_PAD src0_sel:DWORD src1_sel:WORD_1
	v_fma_f16 v82, v19, s21, v81
	v_add_f16_e32 v80, v82, v80
	v_mul_f16_e32 v82, 0x3b15, v48
	v_fma_f16 v83, v21, s25, v82
	v_add_f16_e32 v80, v83, v80
	v_mul_f16_e32 v83, 0x2fb7, v53
	;; [unrolled: 3-line block ×4, first 2 shown]
	v_fma_f16 v86, v41, s24, v85
	v_fma_f16 v79, v17, s18, v79
	v_add_f16_e32 v80, v86, v80
	v_mul_f16_sdwa v86, v17, s18 dst_sel:DWORD dst_unused:UNUSED_PAD src0_sel:WORD_1 src1_sel:DWORD
	v_add_f16_sdwa v79, v79, v0 dst_sel:DWORD dst_unused:UNUSED_PAD src0_sel:DWORD src1_sel:WORD_1
	v_fma_f16 v81, v19, s28, v81
	v_fma_f16 v87, v18, s11, v86
	v_mul_f16_sdwa v88, v19, s28 dst_sel:DWORD dst_unused:UNUSED_PAD src0_sel:WORD_1 src1_sel:DWORD
	v_add_f16_e32 v79, v81, v79
	v_fma_f16 v81, v21, s19, v82
	v_add_f16_e32 v87, v87, v0
	v_fma_f16 v89, v20, s20, v88
	s_movk_i32 s29, 0x33a8
	v_add_f16_e32 v79, v81, v79
	v_fma_f16 v81, v24, s22, v83
	v_add_f16_e32 v87, v89, v87
	v_mul_f16_sdwa v89, v21, s19 dst_sel:DWORD dst_unused:UNUSED_PAD src0_sel:WORD_1 src1_sel:DWORD
	s_movk_i32 s27, 0x3a95
	v_add_f16_e32 v79, v81, v79
	v_fma_f16 v81, v32, s29, v84
	v_fma_f16 v90, v23, s8, v89
	v_add_f16_e32 v79, v81, v79
	v_fma_f16 v81, v41, s27, v85
	v_add_f16_e32 v87, v90, v87
	v_mul_f16_sdwa v90, v24, s22 dst_sel:DWORD dst_unused:UNUSED_PAD src0_sel:WORD_1 src1_sel:DWORD
	v_add_f16_e32 v79, v81, v79
	v_fma_f16 v81, v18, s11, -v86
	v_fma_f16 v91, v26, s10, v90
	v_add_f16_e32 v81, v81, v0
	v_fma_f16 v82, v20, s20, -v88
	v_add_f16_e32 v87, v91, v87
	v_mul_f16_sdwa v91, v32, s29 dst_sel:DWORD dst_unused:UNUSED_PAD src0_sel:WORD_1 src1_sel:DWORD
	v_add_f16_e32 v81, v82, v81
	v_fma_f16 v82, v23, s8, -v89
	v_fma_f16 v92, v34, s17, v91
	v_add_f16_e32 v81, v82, v81
	v_fma_f16 v82, v26, s10, -v90
	v_add_f16_e32 v87, v92, v87
	v_mul_f16_sdwa v92, v41, s27 dst_sel:DWORD dst_unused:UNUSED_PAD src0_sel:WORD_1 src1_sel:DWORD
	v_add_f16_e32 v81, v82, v81
	v_fma_f16 v82, v34, s17, -v91
	v_add_f16_e32 v81, v82, v81
	v_fma_f16 v82, v46, s9, -v92
	v_add_f16_e32 v81, v82, v81
	v_mul_f16_e32 v82, 0x2fb7, v36
	v_add_f16_e32 v47, v47, v82
	v_mul_f16_e32 v82, 0xbbc4, v44
	v_add_f16_e32 v54, v54, v82
	v_add_f16_sdwa v47, v47, v0 dst_sel:DWORD dst_unused:UNUSED_PAD src0_sel:DWORD src1_sel:WORD_1
	v_add_f16_e32 v47, v54, v47
	v_mul_f16_e32 v54, 0xb5ac, v48
	v_fma_f16 v93, v46, s9, v92
	v_add_f16_e32 v54, v58, v54
	v_add_f16_e32 v87, v93, v87
	v_mul_f16_e32 v93, 0xb9fd, v36
	v_add_f16_e32 v47, v54, v47
	v_mul_f16_e32 v54, 0x3b15, v53
	v_fma_f16 v94, v17, s28, v93
	v_mul_f16_e32 v95, 0x2fb7, v44
	v_add_f16_e32 v54, v63, v54
	v_add_f16_sdwa v94, v94, v0 dst_sel:DWORD dst_unused:UNUSED_PAD src0_sel:DWORD src1_sel:WORD_1
	v_fma_f16 v96, v19, s22, v95
	v_add_f16_e32 v47, v54, v47
	v_mul_f16_e32 v54, 0x388b, v59
	v_add_f16_e32 v94, v96, v94
	v_mul_f16_e32 v96, 0x388b, v48
	v_add_f16_e32 v54, v68, v54
	v_fma_f16 v97, v21, s27, v96
	v_add_f16_e32 v47, v54, v47
	v_mul_f16_e32 v54, 0xb9fd, v76
	v_add_f16_e32 v94, v97, v94
	v_mul_f16_e32 v97, 0xbbc4, v53
	v_add_f16_e32 v54, v78, v54
	v_fma_f16 v98, v24, s16, v97
	v_add_f16_e32 v47, v54, v47
	v_mul_f16_e32 v54, 0x2fb7, v18
	v_add_f16_e32 v94, v98, v94
	v_mul_f16_e32 v98, 0x3b15, v59
	v_sub_f16_e32 v42, v54, v42
	v_mul_f16_e32 v54, 0xbbc4, v20
	v_mul_f16_e32 v36, 0x388b, v36
	v_fma_f16 v99, v32, s25, v98
	v_fma_f16 v93, v17, s21, v93
	v_sub_f16_e32 v49, v54, v49
	v_add_f16_e32 v42, v42, v0
	v_mul_f16_e32 v44, 0xb5ac, v44
	v_add_f16_e32 v31, v31, v36
	v_add_f16_e32 v94, v99, v94
	v_mul_f16_e32 v99, 0xb5ac, v76
	v_add_f16_sdwa v93, v93, v0 dst_sel:DWORD dst_unused:UNUSED_PAD src0_sel:DWORD src1_sel:WORD_1
	v_fma_f16 v95, v19, s23, v95
	v_alignbit_b32 v54, v0, v0, 16
	v_add_f16_e32 v42, v49, v42
	v_mul_f16_e32 v49, 0xb5ac, v23
	v_mul_f16_e32 v48, 0xbbc4, v48
	v_add_f16_sdwa v31, v31, v0 dst_sel:DWORD dst_unused:UNUSED_PAD src0_sel:DWORD src1_sel:WORD_1
	v_add_f16_e32 v39, v39, v44
	v_fma_f16 v100, v41, s26, v99
	v_add_f16_e32 v93, v95, v93
	v_fma_f16 v95, v21, s24, v96
	v_sub_f16_e32 v49, v49, v52
	v_mul_f16_e32 v53, 0xb9fd, v53
	v_add_f16_e32 v31, v39, v31
	v_add_f16_e32 v39, v45, v48
	v_pk_add_f16 v1, v1, v54 op_sel:[0,1] op_sel_hi:[1,0]
	v_add_f16_e32 v94, v100, v94
	v_mul_f16_sdwa v100, v17, s21 dst_sel:DWORD dst_unused:UNUSED_PAD src0_sel:WORD_1 src1_sel:DWORD
	v_add_f16_e32 v93, v95, v93
	v_fma_f16 v95, v24, s29, v97
	v_add_f16_e32 v42, v49, v42
	v_mul_f16_e32 v49, 0x3b15, v26
	v_mul_f16_e32 v59, 0x2fb7, v59
	v_add_f16_e32 v31, v39, v31
	v_add_f16_e32 v39, v51, v53
	v_pk_add_f16 v1, v12, v1
	v_fma_f16 v101, v18, s20, v100
	v_mul_f16_sdwa v102, v19, s23 dst_sel:DWORD dst_unused:UNUSED_PAD src0_sel:WORD_1 src1_sel:DWORD
	v_add_f16_e32 v93, v95, v93
	v_fma_f16 v95, v32, s19, v98
	v_sub_f16_e32 v49, v49, v57
	v_mul_f16_e32 v63, 0x3b15, v76
	v_add_f16_e32 v31, v39, v31
	v_add_f16_e32 v39, v55, v59
	v_pk_add_f16 v1, v13, v1
	v_add_f16_e32 v101, v101, v0
	v_fma_f16 v103, v20, s10, v102
	v_add_f16_e32 v93, v95, v93
	v_fma_f16 v95, v41, s18, v99
	v_mul_f16_e32 v52, 0x3b15, v18
	v_add_f16_e32 v42, v49, v42
	v_mul_f16_e32 v49, 0x388b, v34
	v_add_f16_e32 v31, v39, v31
	v_add_f16_e32 v39, v69, v63
	s_mov_b32 s22, 0xffff
	v_pk_add_f16 v1, v14, v1
	v_add_f16_e32 v101, v103, v101
	v_mul_f16_sdwa v103, v21, s24 dst_sel:DWORD dst_unused:UNUSED_PAD src0_sel:WORD_1 src1_sel:DWORD
	v_add_f16_e32 v93, v95, v93
	v_fma_f16 v95, v18, s20, -v100
	v_mul_f16_e32 v57, 0x388b, v20
	v_sub_f16_e32 v49, v49, v61
	v_add_f16_e32 v31, v39, v31
	v_bfi_b32 v39, s22, v60, v70
	v_sub_f16_e32 v22, v52, v22
	v_pk_add_f16 v1, v15, v1
	v_fma_f16 v104, v23, s9, v103
	v_add_f16_e32 v95, v95, v0
	v_mul_f16_e32 v58, 0x2fb7, v23
	v_add_f16_e32 v42, v49, v42
	v_mul_f16_e32 v49, 0xb9fd, v46
	v_bfi_b32 v44, s22, v62, v71
	v_add_f16_e32 v0, v22, v0
	v_sub_f16_e32 v22, v57, v25
	v_pk_add_f16 v1, v2, v1
	v_pk_add_f16 v2, v39, v54
	v_add_f16_e32 v101, v104, v101
	v_mul_f16_sdwa v104, v24, s29 dst_sel:DWORD dst_unused:UNUSED_PAD src0_sel:WORD_1 src1_sel:DWORD
	v_sub_f16_e32 v49, v49, v77
	v_mul_f16_e32 v61, 0xb5ac, v26
	v_bfi_b32 v45, s22, v64, v72
	v_add_f16_e32 v0, v22, v0
	v_sub_f16_e32 v22, v58, v33
	v_pk_add_f16 v2, v44, v2
	v_fma_f16 v105, v26, s17, v104
	v_fma_f16 v96, v20, s10, -v102
	v_add_f16_e32 v42, v49, v42
	v_mul_f16_e32 v49, 0xb9fd, v34
	v_bfi_b32 v48, s22, v65, v73
	v_add_f16_e32 v0, v22, v0
	v_sub_f16_e32 v22, v61, v43
	v_pk_add_f16 v2, v45, v2
	v_add_f16_e32 v101, v105, v101
	v_mul_f16_sdwa v105, v32, s19 dst_sel:DWORD dst_unused:UNUSED_PAD src0_sel:WORD_1 src1_sel:DWORD
	v_add_f16_e32 v95, v96, v95
	v_fma_f16 v96, v23, s9, -v103
	v_mul_f16_e32 v36, 0xbbc4, v46
	v_bfi_b32 v51, s22, v66, v74
	v_add_f16_e32 v0, v22, v0
	v_sub_f16_e32 v22, v49, v50
	v_pk_add_f16 v1, v3, v1
	v_pk_add_f16 v2, v48, v2
	v_fma_f16 v106, v34, s8, v105
	v_add_f16_e32 v95, v96, v95
	v_fma_f16 v96, v26, s17, -v104
	v_bfi_b32 v53, s22, v67, v75
	v_add_f16_e32 v0, v22, v0
	v_sub_f16_e32 v22, v36, v56
	v_pk_add_f16 v1, v4, v1
	v_pk_add_f16 v2, v51, v2
	v_add_f16_e32 v101, v106, v101
	v_mul_f16_sdwa v106, v41, s18 dst_sel:DWORD dst_unused:UNUSED_PAD src0_sel:WORD_1 src1_sel:DWORD
	v_add_f16_e32 v95, v96, v95
	v_fma_f16 v96, v34, s8, -v105
	v_add_f16_e32 v0, v22, v0
	v_pk_add_f16 v1, v5, v1
	v_pk_add_f16 v2, v53, v2
	v_add_f16_e32 v95, v96, v95
	v_fma_f16 v96, v46, s11, -v106
	v_add_lshl_u32 v22, v27, v35, 2
	v_pk_add_f16 v1, v6, v1
	v_alignbit_b32 v3, v31, v2, 16
	v_pack_b32_f16 v0, v0, v2
	v_add_f16_e32 v95, v96, v95
	v_pk_add_f16 v1, v7, v1
	ds_write2_b32 v22, v0, v3 offset0:1 offset1:2
	v_pack_b32_f16 v0, v42, v47
	v_pack_b32_f16 v2, v81, v79
	v_pk_add_f16 v1, v10, v1
	ds_write2_b32 v22, v0, v2 offset0:3 offset1:4
	v_pack_b32_f16 v0, v95, v93
	ds_write2_b32 v22, v1, v0 offset1:5
	v_pk_mul_f16 v0, v18, s17 op_sel_hi:[1,0]
	v_pk_fma_f16 v1, v17, s16, v0 op_sel:[0,0,1] op_sel_hi:[1,0,0] neg_lo:[1,0,0] neg_hi:[1,0,0]
	v_pk_mul_f16 v2, v20, s8 op_sel_hi:[1,0]
	v_pk_add_f16 v1, v1, v54
	v_pk_fma_f16 v3, v19, s19, v2 op_sel:[0,0,1] op_sel_hi:[1,0,0] neg_lo:[1,0,0] neg_hi:[1,0,0]
	v_pk_add_f16 v1, v3, v1
	v_pk_mul_f16 v3, v23, s20 op_sel_hi:[1,0]
	v_pk_fma_f16 v4, v21, s21, v3 op_sel:[0,0,1] op_sel_hi:[1,0,0] neg_lo:[1,0,0] neg_hi:[1,0,0]
	v_pk_add_f16 v1, v4, v1
	v_pk_mul_f16 v4, v26, s9 op_sel_hi:[1,0]
	v_pk_fma_f16 v0, v17, s16, v0 op_sel:[0,0,1] op_sel_hi:[1,0,0]
	v_pk_fma_f16 v5, v24, s27, v4 op_sel:[0,0,1] op_sel_hi:[1,0,0] neg_lo:[1,0,0] neg_hi:[1,0,0]
	v_pk_add_f16 v0, v0, v54
	v_pk_fma_f16 v2, v19, s19, v2 op_sel:[0,0,1] op_sel_hi:[1,0,0]
	v_pk_add_f16 v1, v5, v1
	v_pk_mul_f16 v5, v34, s11 op_sel_hi:[1,0]
	v_pk_add_f16 v0, v2, v0
	v_pk_fma_f16 v2, v21, s21, v3 op_sel:[0,0,1] op_sel_hi:[1,0,0]
	v_pk_fma_f16 v6, v32, s18, v5 op_sel:[0,0,1] op_sel_hi:[1,0,0] neg_lo:[1,0,0] neg_hi:[1,0,0]
	v_pk_add_f16 v0, v2, v0
	v_pk_fma_f16 v2, v24, s27, v4 op_sel:[0,0,1] op_sel_hi:[1,0,0]
	v_pk_add_f16 v1, v6, v1
	v_pk_mul_f16 v6, v46, s10 op_sel_hi:[1,0]
	v_pk_add_f16 v0, v2, v0
	v_pk_fma_f16 v2, v32, s18, v5 op_sel:[0,0,1] op_sel_hi:[1,0,0]
	v_pk_fma_f16 v7, v41, s23, v6 op_sel:[0,0,1] op_sel_hi:[1,0,0] neg_lo:[1,0,0] neg_hi:[1,0,0]
	v_pk_add_f16 v0, v2, v0
	v_pk_fma_f16 v2, v41, s23, v6 op_sel:[0,0,1] op_sel_hi:[1,0,0]
	v_fma_f16 v107, v46, s11, v106
	v_pk_add_f16 v1, v7, v1
	v_pk_add_f16 v0, v2, v0
	v_add_f16_e32 v101, v107, v101
	v_alignbit_b32 v2, v1, v0, 16
	v_alignbit_b32 v0, v0, v1, 16
	ds_write2_b32 v22, v0, v2 offset0:6 offset1:7
	v_pack_b32_f16 v0, v87, v80
	v_pack_b32_f16 v1, v101, v94
	s_mov_b32 s8, 0x5040100
	ds_write2_b32 v22, v1, v0 offset0:8 offset1:9
	v_perm_b32 v0, v28, v8, s8
	v_perm_b32 v1, v29, v11, s8
	ds_write2_b32 v22, v1, v0 offset0:10 offset1:11
	v_perm_b32 v0, v30, v9, s8
	ds_write_b32 v22, v0 offset:48
.LBB0_7:
	s_or_b64 exec, exec, s[4:5]
	v_add_co_u32_e32 v12, vcc, 0x5b, v38
	s_movk_i32 s4, 0x111
	s_load_dwordx4 s[8:11], s[2:3], 0x0
	s_mov_b64 s[2:3], vcc
	v_add_co_u32_e32 v3, vcc, s4, v38
	s_movk_i32 s4, 0x16c
	v_add_co_u32_e32 v4, vcc, s4, v38
	s_movk_i32 s4, 0x4f
	v_mul_lo_u16_sdwa v1, v38, s4 dst_sel:DWORD dst_unused:UNUSED_PAD src0_sel:BYTE_0 src1_sel:DWORD
	v_lshrrev_b16_e32 v21, 10, v1
	v_mul_lo_u16_e32 v0, 13, v21
	v_sub_u16_e32 v22, v38, v0
	v_mul_lo_u16_sdwa v0, v12, s4 dst_sel:DWORD dst_unused:UNUSED_PAD src0_sel:BYTE_0 src1_sel:DWORD
	v_lshrrev_b16_e32 v23, 10, v0
	v_add_co_u32_e32 v2, vcc, 0xb6, v38
	v_mul_lo_u16_e32 v7, 13, v23
	s_movk_i32 s4, 0x4ec5
	v_sub_u16_e32 v24, v12, v7
	v_mul_u32_u24_sdwa v7, v2, s4 dst_sel:DWORD dst_unused:UNUSED_PAD src0_sel:WORD_0 src1_sel:DWORD
	v_lshrrev_b32_e32 v25, 18, v7
	v_mul_lo_u16_e32 v7, 13, v25
	v_mov_b32_e32 v5, 2
	v_sub_u16_e32 v26, v2, v7
	v_mul_u32_u24_sdwa v7, v3, s4 dst_sel:DWORD dst_unused:UNUSED_PAD src0_sel:WORD_0 src1_sel:DWORD
	v_lshlrev_b32_sdwa v6, v5, v22 dst_sel:DWORD dst_unused:UNUSED_PAD src0_sel:DWORD src1_sel:BYTE_0
	v_lshlrev_b32_sdwa v5, v5, v24 dst_sel:DWORD dst_unused:UNUSED_PAD src0_sel:DWORD src1_sel:BYTE_0
	v_lshrrev_b32_e32 v34, 18, v7
	s_waitcnt lgkmcnt(0)
	s_barrier
	global_load_dword v45, v6, s[14:15]
	global_load_dword v44, v5, s[14:15]
	v_mul_lo_u16_e32 v6, 13, v34
	v_sub_u16_e32 v36, v3, v6
	v_lshlrev_b32_e32 v2, 2, v26
	v_lshlrev_b32_e32 v3, 2, v36
	global_load_dword v47, v3, s[14:15]
	v_mul_u32_u24_sdwa v5, v4, s4 dst_sel:DWORD dst_unused:UNUSED_PAD src0_sel:WORD_0 src1_sel:DWORD
	global_load_dword v48, v2, s[14:15]
	v_lshrrev_b32_e32 v39, 18, v5
	v_mul_lo_u16_e32 v5, 13, v39
	v_sub_u16_e32 v42, v4, v5
	v_lshlrev_b32_e32 v2, 2, v42
	global_load_dword v46, v2, s[14:15]
	v_add_lshl_u32 v41, v27, v38, 2
	v_add_u32_e32 v3, 0x400, v41
	ds_read2_b32 v[4:5], v41 offset1:91
	v_add_u32_e32 v2, 0x800, v41
	v_add_u32_e32 v10, 0x200, v41
	;; [unrolled: 1-line block ×3, first 2 shown]
	ds_read2_b32 v[6:7], v3 offset0:108 offset1:199
	ds_read2_b32 v[13:14], v2 offset0:34 offset1:125
	;; [unrolled: 1-line block ×4, first 2 shown]
	s_waitcnt lgkmcnt(4)
	v_lshrrev_b32_e32 v10, 16, v4
	s_waitcnt lgkmcnt(3)
	v_lshrrev_b32_e32 v31, 16, v7
	;; [unrolled: 2-line block ×3, first 2 shown]
	v_lshrrev_b32_e32 v43, 16, v14
	s_waitcnt lgkmcnt(0)
	v_lshrrev_b32_e32 v52, 16, v20
	v_lshrrev_b32_e32 v50, 16, v19
	;; [unrolled: 1-line block ×5, first 2 shown]
	s_waitcnt vmcnt(0)
	s_barrier
	v_lshrrev_b32_e32 v33, 16, v17
	v_cmp_gt_u16_e32 vcc, 39, v38
	v_mul_f16_sdwa v53, v31, v45 dst_sel:DWORD dst_unused:UNUSED_PAD src0_sel:DWORD src1_sel:WORD_1
	v_mul_f16_sdwa v54, v7, v45 dst_sel:DWORD dst_unused:UNUSED_PAD src0_sel:DWORD src1_sel:WORD_1
	;; [unrolled: 1-line block ×4, first 2 shown]
	v_fma_f16 v7, v7, v45, -v53
	v_fma_f16 v31, v31, v45, v54
	v_fma_f16 v13, v13, v44, -v55
	v_fma_f16 v32, v32, v44, v56
	v_mul_f16_sdwa v53, v43, v48 dst_sel:DWORD dst_unused:UNUSED_PAD src0_sel:DWORD src1_sel:WORD_1
	v_mul_f16_sdwa v54, v14, v48 dst_sel:DWORD dst_unused:UNUSED_PAD src0_sel:DWORD src1_sel:WORD_1
	;; [unrolled: 1-line block ×3, first 2 shown]
	v_fma_f16 v14, v14, v48, -v53
	v_sub_f16_e32 v53, v10, v31
	v_mul_f16_sdwa v57, v52, v46 dst_sel:DWORD dst_unused:UNUSED_PAD src0_sel:DWORD src1_sel:WORD_1
	v_mul_f16_sdwa v58, v20, v46 dst_sel:DWORD dst_unused:UNUSED_PAD src0_sel:DWORD src1_sel:WORD_1
	v_fma_f16 v20, v20, v46, -v57
	v_mul_f16_sdwa v56, v19, v47 dst_sel:DWORD dst_unused:UNUSED_PAD src0_sel:DWORD src1_sel:WORD_1
	v_fma_f16 v43, v43, v48, v54
	v_fma_f16 v19, v19, v47, -v55
	v_fma_f16 v54, v10, 2.0, -v53
	v_sub_f16_e32 v55, v15, v32
	v_sub_f16_e32 v10, v6, v20
	v_fma_f16 v50, v50, v47, v56
	v_sub_f16_e32 v7, v4, v7
	v_fma_f16 v56, v15, 2.0, -v55
	v_fma_f16 v15, v6, 2.0, -v10
	v_mul_u32_u24_e32 v6, 26, v21
	v_fma_f16 v4, v4, 2.0, -v7
	v_sub_f16_e32 v31, v49, v50
	v_add_u32_sdwa v6, v6, v22 dst_sel:DWORD dst_unused:UNUSED_PAD src0_sel:DWORD src1_sel:BYTE_0
	v_sub_f16_e32 v57, v17, v14
	v_sub_f16_e32 v14, v18, v19
	v_fma_f16 v19, v49, 2.0, -v31
	v_add_lshl_u32 v49, v27, v6, 2
	v_pack_b32_f16 v4, v4, v54
	v_pack_b32_f16 v6, v7, v53
	v_sub_f16_e32 v13, v5, v13
	ds_write2_b32 v49, v4, v6 offset1:13
	v_mul_u32_u24_e32 v4, 26, v23
	v_fma_f16 v5, v5, 2.0, -v13
	v_add_u32_sdwa v4, v4, v24 dst_sel:DWORD dst_unused:UNUSED_PAD src0_sel:DWORD src1_sel:BYTE_0
	v_fma_f16 v52, v52, v46, v58
	v_sub_f16_e32 v43, v33, v43
	v_add_lshl_u32 v50, v27, v4, 2
	v_pack_b32_f16 v4, v5, v56
	v_pack_b32_f16 v5, v13, v55
	v_fma_f16 v17, v17, 2.0, -v57
	v_fma_f16 v58, v33, 2.0, -v43
	v_sub_f16_e32 v32, v51, v52
	ds_write2_b32 v50, v4, v5 offset1:13
	v_mad_legacy_u16 v4, v25, 26, v26
	v_fma_f16 v33, v51, 2.0, -v32
	v_add_lshl_u32 v51, v27, v4, 2
	v_pack_b32_f16 v4, v17, v58
	v_pack_b32_f16 v5, v57, v43
	v_fma_f16 v18, v18, 2.0, -v14
	ds_write2_b32 v51, v4, v5 offset1:13
	v_mad_legacy_u16 v4, v34, 26, v36
	v_add_lshl_u32 v52, v27, v4, 2
	v_pack_b32_f16 v4, v18, v19
	v_pack_b32_f16 v5, v14, v31
	ds_write2_b32 v52, v4, v5 offset1:13
	v_mad_legacy_u16 v4, v39, 26, v42
	v_add_lshl_u32 v53, v27, v4, 2
	v_pack_b32_f16 v4, v15, v33
	v_pack_b32_f16 v5, v10, v32
	ds_write2_b32 v53, v4, v5 offset1:13
	s_waitcnt lgkmcnt(0)
	s_barrier
	ds_read2_b32 v[21:22], v41 offset1:130
	ds_read2_b32 v[25:26], v3 offset0:4 offset1:134
	ds_read2_b32 v[23:24], v2 offset0:8 offset1:138
	ds_read_b32 v34, v41 offset:3120
	v_addc_co_u32_e64 v13, s[2:3], 0, 0, s[2:3]
                                        ; implicit-def: $vgpr36
                                        ; implicit-def: $vgpr39
	s_and_saveexec_b64 s[2:3], vcc
	s_cbranch_execz .LBB0_9
; %bb.8:
	ds_read2_b32 v[14:15], v41 offset0:91 offset1:221
	ds_read2_b32 v[10:11], v3 offset0:95 offset1:225
	;; [unrolled: 1-line block ×3, first 2 shown]
	ds_read_b32 v36, v41 offset:3484
	s_waitcnt lgkmcnt(3)
	v_lshrrev_b32_e32 v31, 16, v14
	v_lshrrev_b32_e32 v33, 16, v15
	s_waitcnt lgkmcnt(2)
	v_lshrrev_b32_e32 v32, 16, v10
	v_lshrrev_b32_e32 v29, 16, v11
	;; [unrolled: 3-line block ×3, first 2 shown]
	s_waitcnt lgkmcnt(0)
	v_lshrrev_b32_e32 v39, 16, v36
.LBB0_9:
	s_or_b64 exec, exec, s[2:3]
	v_lshrrev_b16_e32 v60, 11, v1
	v_mul_lo_u16_e32 v1, 26, v60
	v_sub_u16_e32 v1, v38, v1
	v_and_b32_e32 v61, 0xff, v1
	v_lshrrev_b16_e32 v42, 11, v0
	v_mad_u64_u32 v[54:55], s[2:3], v61, 24, s[14:15]
	v_mul_lo_u16_e32 v0, 26, v42
	v_sub_u16_e32 v0, v12, v0
	v_and_b32_e32 v43, 0xff, v0
	v_mad_u64_u32 v[56:57], s[2:3], v43, 24, s[14:15]
	global_load_dwordx4 v[4:7], v[54:55], off offset:52
	global_load_dwordx2 v[19:20], v[54:55], off offset:68
	global_load_dwordx4 v[0:3], v[56:57], off offset:52
	global_load_dwordx2 v[17:18], v[56:57], off offset:68
	s_waitcnt lgkmcnt(3)
	v_lshrrev_b32_e32 v54, 16, v22
	s_waitcnt lgkmcnt(2)
	v_lshrrev_b32_e32 v55, 16, v25
	s_waitcnt lgkmcnt(1)
	v_lshrrev_b32_e32 v58, 16, v24
	s_waitcnt lgkmcnt(0)
	v_lshrrev_b32_e32 v59, 16, v34
	v_lshrrev_b32_e32 v56, 16, v26
	v_lshrrev_b32_e32 v57, 16, v23
	s_movk_i32 s2, 0x2b26
	s_movk_i32 s3, 0x3b00
	s_mov_b32 s4, 0xbcab
	s_movk_i32 s5, 0x39e0
	s_mov_b32 s16, 0xb9e0
	;; [unrolled: 2-line block ×3, first 2 shown]
	s_movk_i32 s19, 0x370e
	s_waitcnt vmcnt(0)
	s_barrier
	v_mul_f16_sdwa v70, v58, v19 dst_sel:DWORD dst_unused:UNUSED_PAD src0_sel:DWORD src1_sel:WORD_1
	v_mul_f16_sdwa v62, v54, v4 dst_sel:DWORD dst_unused:UNUSED_PAD src0_sel:DWORD src1_sel:WORD_1
	;; [unrolled: 1-line block ×12, first 2 shown]
	v_fma_f16 v22, v22, v4, -v62
	v_fma_f16 v54, v54, v4, v63
	v_fma_f16 v25, v25, v5, -v64
	v_fma_f16 v55, v55, v5, v65
	;; [unrolled: 2-line block ×6, first 2 shown]
	v_add_f16_e32 v62, v22, v34
	v_add_f16_e32 v63, v54, v59
	v_sub_f16_e32 v22, v22, v34
	v_sub_f16_e32 v34, v54, v59
	v_add_f16_e32 v54, v25, v24
	v_add_f16_e32 v59, v55, v58
	v_sub_f16_e32 v24, v25, v24
	v_sub_f16_e32 v25, v55, v58
	;; [unrolled: 4-line block ×4, first 2 shown]
	v_sub_f16_e32 v62, v62, v55
	v_sub_f16_e32 v63, v63, v58
	;; [unrolled: 1-line block ×4, first 2 shown]
	v_add_f16_e32 v66, v23, v24
	v_add_f16_e32 v67, v26, v25
	v_sub_f16_e32 v68, v23, v24
	v_sub_f16_e32 v69, v26, v25
	v_sub_f16_e32 v24, v24, v22
	v_sub_f16_e32 v25, v25, v34
	v_add_f16_e32 v55, v55, v56
	v_add_f16_e32 v56, v58, v57
	v_sub_f16_e32 v23, v22, v23
	v_sub_f16_e32 v26, v34, v26
	v_add_f16_e32 v22, v66, v22
	v_add_f16_e32 v34, v67, v34
	;; [unrolled: 1-line block ×3, first 2 shown]
	v_add_f16_sdwa v67, v21, v56 dst_sel:DWORD dst_unused:UNUSED_PAD src0_sel:WORD_1 src1_sel:DWORD
	v_mul_f16_e32 v21, 0x3a52, v62
	v_mul_f16_e32 v57, 0x3a52, v63
	;; [unrolled: 1-line block ×8, first 2 shown]
	v_mul_f16_sdwa v74, v33, v0 dst_sel:DWORD dst_unused:UNUSED_PAD src0_sel:DWORD src1_sel:WORD_1
	v_mul_f16_sdwa v75, v15, v0 dst_sel:DWORD dst_unused:UNUSED_PAD src0_sel:DWORD src1_sel:WORD_1
	;; [unrolled: 1-line block ×8, first 2 shown]
	v_fma_f16 v55, v55, s4, v66
	v_fma_f16 v56, v56, s4, v67
	v_fma_f16 v54, v54, s2, v21
	v_fma_f16 v59, v59, s2, v57
	v_fma_f16 v58, v64, s5, -v58
	v_fma_f16 v62, v65, s5, -v62
	v_fma_f16 v21, v64, s16, -v21
	v_fma_f16 v57, v65, s16, -v57
	v_fma_f16 v64, v23, s17, v63
	v_fma_f16 v65, v26, s17, v68
	v_fma_f16 v24, v24, s3, -v63
	v_fma_f16 v25, v25, s3, -v68
	;; [unrolled: 1-line block ×4, first 2 shown]
	v_mul_f16_sdwa v78, v29, v2 dst_sel:DWORD dst_unused:UNUSED_PAD src0_sel:DWORD src1_sel:WORD_1
	v_mul_f16_sdwa v79, v11, v2 dst_sel:DWORD dst_unused:UNUSED_PAD src0_sel:DWORD src1_sel:WORD_1
	v_mul_f16_sdwa v80, v28, v3 dst_sel:DWORD dst_unused:UNUSED_PAD src0_sel:DWORD src1_sel:WORD_1
	v_mul_f16_sdwa v81, v8, v3 dst_sel:DWORD dst_unused:UNUSED_PAD src0_sel:DWORD src1_sel:WORD_1
	v_fma_f16 v15, v15, v0, -v74
	v_fma_f16 v33, v33, v0, v75
	v_fma_f16 v10, v10, v1, -v76
	v_fma_f16 v32, v32, v1, v77
	;; [unrolled: 2-line block ×4, first 2 shown]
	v_add_f16_e32 v54, v54, v55
	v_add_f16_e32 v59, v59, v56
	;; [unrolled: 1-line block ×6, first 2 shown]
	v_fma_f16 v56, v22, s19, v64
	v_fma_f16 v24, v22, s19, v24
	v_fma_f16 v25, v34, s19, v25
	v_fma_f16 v22, v22, s19, v23
	v_fma_f16 v23, v34, s19, v26
	v_fma_f16 v11, v11, v2, -v78
	v_fma_f16 v29, v29, v2, v79
	v_fma_f16 v8, v8, v3, -v80
	v_fma_f16 v28, v28, v3, v81
	v_fma_f16 v57, v34, s19, v65
	v_add_f16_e32 v64, v23, v21
	v_sub_f16_e32 v65, v55, v22
	v_sub_f16_e32 v68, v58, v25
	v_add_f16_e32 v69, v24, v62
	v_add_f16_e32 v70, v25, v58
	v_sub_f16_e32 v62, v62, v24
	v_sub_f16_e32 v71, v21, v23
	v_add_f16_e32 v72, v22, v55
	v_add_f16_e32 v21, v15, v36
	;; [unrolled: 1-line block ×5, first 2 shown]
	v_sub_f16_e32 v15, v15, v36
	v_sub_f16_e32 v9, v10, v9
	;; [unrolled: 1-line block ×3, first 2 shown]
	v_add_f16_e32 v26, v11, v8
	v_add_f16_e32 v30, v29, v28
	v_sub_f16_e32 v8, v8, v11
	v_sub_f16_e32 v11, v28, v29
	v_add_f16_e32 v28, v24, v21
	v_add_f16_e32 v29, v25, v22
	;; [unrolled: 1-line block ×3, first 2 shown]
	v_sub_f16_e32 v73, v54, v57
	v_sub_f16_e32 v23, v33, v39
	;; [unrolled: 1-line block ×7, first 2 shown]
	v_add_f16_e32 v36, v8, v9
	v_sub_f16_e32 v54, v8, v9
	v_sub_f16_e32 v57, v9, v15
	v_add_f16_e32 v26, v26, v28
	v_add_f16_e32 v28, v30, v29
	v_sub_f16_e32 v63, v59, v56
	v_add_f16_e32 v74, v56, v59
	v_sub_f16_e32 v25, v30, v25
	v_add_f16_e32 v39, v11, v10
	v_sub_f16_e32 v55, v11, v10
	v_sub_f16_e32 v56, v15, v8
	v_sub_f16_e32 v10, v10, v23
	v_add_f16_e32 v29, v36, v15
	v_add_f16_e32 v8, v14, v26
	;; [unrolled: 1-line block ×3, first 2 shown]
	v_mul_f16_e32 v14, 0x3a52, v21
	v_mul_f16_e32 v15, 0x3a52, v22
	v_mul_f16_e32 v21, 0x2b26, v24
	v_mul_f16_e32 v30, 0xb846, v54
	v_mul_f16_e32 v36, 0x3b00, v57
	v_sub_f16_e32 v11, v23, v11
	v_add_f16_e32 v23, v39, v23
	v_mul_f16_e32 v22, 0x2b26, v25
	v_mul_f16_e32 v31, 0xb846, v55
	;; [unrolled: 1-line block ×3, first 2 shown]
	v_fma_f16 v26, v26, s4, v8
	v_fma_f16 v28, v28, s4, v9
	;; [unrolled: 1-line block ×4, first 2 shown]
	v_fma_f16 v21, v32, s5, -v21
	v_fma_f16 v14, v32, s16, -v14
	;; [unrolled: 1-line block ×3, first 2 shown]
	v_fma_f16 v32, v56, s17, v30
	v_fma_f16 v30, v57, s3, -v30
	v_fma_f16 v36, v56, s18, -v36
	;; [unrolled: 1-line block ×3, first 2 shown]
	v_fma_f16 v33, v11, s17, v31
	v_fma_f16 v31, v10, s3, -v31
	v_fma_f16 v39, v11, s18, -v39
	v_add_f16_e32 v10, v24, v26
	v_add_f16_e32 v11, v25, v28
	;; [unrolled: 1-line block ×5, first 2 shown]
	v_fma_f16 v15, v29, s19, v32
	v_fma_f16 v30, v29, s19, v30
	;; [unrolled: 1-line block ×3, first 2 shown]
	v_mul_u32_u24_e32 v29, 0xb6, v60
	v_add_f16_e32 v54, v22, v28
	v_add_u32_e32 v29, v29, v61
	v_add_f16_e32 v57, v30, v54
	v_sub_f16_e32 v58, v54, v30
	v_add_lshl_u32 v56, v27, v29, 2
	v_pack_b32_f16 v29, v66, v67
	v_pack_b32_f16 v30, v34, v63
	ds_write2_b32 v56, v29, v30 offset1:26
	v_pack_b32_f16 v29, v64, v65
	v_pack_b32_f16 v30, v68, v69
	v_fma_f16 v21, v23, s19, v33
	v_fma_f16 v31, v23, s19, v31
	;; [unrolled: 1-line block ×3, first 2 shown]
	ds_write2_b32 v56, v29, v30 offset0:52 offset1:78
	v_pack_b32_f16 v29, v70, v62
	v_pack_b32_f16 v30, v71, v72
	v_sub_f16_e32 v22, v24, v31
	v_add_f16_e32 v23, v31, v24
	v_sub_f16_e32 v24, v14, v28
	v_add_f16_e32 v59, v26, v25
	;; [unrolled: 2-line block ×3, first 2 shown]
	ds_write2_b32 v56, v29, v30 offset0:104 offset1:130
	v_pack_b32_f16 v29, v73, v74
	ds_write_b32 v56, v29 offset:624
	s_and_saveexec_b64 s[2:3], vcc
	s_cbranch_execz .LBB0_11
; %bb.10:
	s_movk_i32 s4, 0x4f
	v_sub_f16_e32 v11, v11, v15
	v_mul_lo_u16_sdwa v15, v12, s4 dst_sel:DWORD dst_unused:UNUSED_PAD src0_sel:BYTE_0 src1_sel:DWORD
	v_lshrrev_b16_e32 v15, 11, v15
	v_mul_u32_u24_e32 v15, 0xb6, v15
	v_add_f16_e32 v10, v21, v10
	v_add_u32_e32 v15, v15, v43
	s_mov_b32 s4, 0x5040100
	v_sub_f16_e32 v25, v25, v26
	v_add_f16_e32 v14, v28, v14
	v_add_lshl_u32 v15, v27, v15, 2
	v_perm_b32 v8, v9, v8, s4
	v_pack_b32_f16 v9, v10, v11
	ds_write2_b32 v15, v8, v9 offset1:26
	v_pack_b32_f16 v8, v14, v25
	v_perm_b32 v9, v57, v22, s4
	ds_write2_b32 v15, v8, v9 offset0:52 offset1:78
	v_perm_b32 v8, v58, v23, s4
	v_perm_b32 v9, v59, v24, s4
	ds_write2_b32 v15, v8, v9 offset0:104 offset1:130
	v_perm_b32 v8, v55, v54, s4
	ds_write_b32 v15, v8 offset:624
.LBB0_11:
	s_or_b64 exec, exec, s[2:3]
	v_lshlrev_b64 v[12:13], 4, v[12:13]
	v_lshlrev_b32_e32 v8, 4, v38
	s_waitcnt lgkmcnt(0)
	s_barrier
	global_load_dwordx4 v[8:11], v8, s[14:15] offset:676
	v_mov_b32_e32 v14, s15
	v_add_co_u32_e64 v12, s[2:3], s14, v12
	v_addc_co_u32_e64 v13, s[2:3], v14, v13, s[2:3]
	global_load_dwordx4 v[12:15], v[12:13], off offset:676
	v_add_u32_e32 v21, 0x200, v41
	v_add_u32_e32 v27, 0x400, v41
	ds_read2_b32 v[30:31], v41 offset1:91
	v_add_u32_e32 v29, 0x800, v41
	v_add_u32_e32 v34, 0xa00, v41
	ds_read2_b32 v[25:26], v21 offset0:54 offset1:145
	ds_read2_b32 v[27:28], v27 offset0:108 offset1:199
	;; [unrolled: 1-line block ×4, first 2 shown]
	s_movk_i32 s2, 0x3b9c
	s_waitcnt lgkmcnt(3)
	v_lshrrev_b32_e32 v29, 16, v25
	s_waitcnt lgkmcnt(2)
	v_lshrrev_b32_e32 v36, 16, v27
	;; [unrolled: 2-line block ×4, first 2 shown]
	v_lshrrev_b32_e32 v63, 16, v26
	v_lshrrev_b32_e32 v64, 16, v28
	s_mov_b32 s5, 0xbb9c
	v_lshrrev_b32_e32 v65, 16, v33
	v_lshrrev_b32_e32 v66, 16, v61
	s_movk_i32 s3, 0x38b4
	s_mov_b32 s14, 0xb8b4
	v_lshrrev_b32_e32 v21, 16, v30
	s_movk_i32 s4, 0x34f2
	v_lshrrev_b32_e32 v34, 16, v31
	s_waitcnt vmcnt(1)
	v_mul_f16_sdwa v67, v29, v8 dst_sel:DWORD dst_unused:UNUSED_PAD src0_sel:DWORD src1_sel:WORD_1
	v_mul_f16_sdwa v68, v25, v8 dst_sel:DWORD dst_unused:UNUSED_PAD src0_sel:DWORD src1_sel:WORD_1
	v_mul_f16_sdwa v69, v36, v9 dst_sel:DWORD dst_unused:UNUSED_PAD src0_sel:DWORD src1_sel:WORD_1
	v_mul_f16_sdwa v71, v39, v10 dst_sel:DWORD dst_unused:UNUSED_PAD src0_sel:DWORD src1_sel:WORD_1
	v_mul_f16_sdwa v70, v27, v9 dst_sel:DWORD dst_unused:UNUSED_PAD src0_sel:DWORD src1_sel:WORD_1
	v_mul_f16_sdwa v72, v32, v10 dst_sel:DWORD dst_unused:UNUSED_PAD src0_sel:DWORD src1_sel:WORD_1
	v_mul_f16_sdwa v73, v62, v11 dst_sel:DWORD dst_unused:UNUSED_PAD src0_sel:DWORD src1_sel:WORD_1
	v_mul_f16_sdwa v74, v60, v11 dst_sel:DWORD dst_unused:UNUSED_PAD src0_sel:DWORD src1_sel:WORD_1
	v_fma_f16 v67, v25, v8, -v67
	v_fma_f16 v29, v29, v8, v68
	v_fma_f16 v68, v27, v9, -v69
	v_fma_f16 v32, v32, v10, -v71
	v_fma_f16 v36, v36, v9, v70
	v_fma_f16 v69, v60, v11, -v73
	v_fma_f16 v70, v62, v11, v74
	s_waitcnt vmcnt(0)
	v_mul_f16_sdwa v25, v63, v12 dst_sel:DWORD dst_unused:UNUSED_PAD src0_sel:DWORD src1_sel:WORD_1
	v_add_f16_e32 v75, v30, v67
	v_add_f16_e32 v76, v68, v32
	v_fma_f16 v39, v39, v10, v72
	v_mul_f16_sdwa v27, v26, v12 dst_sel:DWORD dst_unused:UNUSED_PAD src0_sel:DWORD src1_sel:WORD_1
	v_mul_f16_sdwa v60, v64, v13 dst_sel:DWORD dst_unused:UNUSED_PAD src0_sel:DWORD src1_sel:WORD_1
	v_sub_f16_e32 v77, v29, v70
	v_add_f16_e32 v81, v67, v69
	v_fma_f16 v82, v26, v12, -v25
	v_add_f16_e32 v25, v75, v68
	v_fma_f16 v26, v76, -0.5, v30
	v_mul_f16_sdwa v62, v28, v13 dst_sel:DWORD dst_unused:UNUSED_PAD src0_sel:DWORD src1_sel:WORD_1
	v_mul_f16_sdwa v71, v65, v14 dst_sel:DWORD dst_unused:UNUSED_PAD src0_sel:DWORD src1_sel:WORD_1
	;; [unrolled: 1-line block ×4, first 2 shown]
	v_sub_f16_e32 v78, v36, v39
	v_sub_f16_e32 v79, v67, v68
	;; [unrolled: 1-line block ×3, first 2 shown]
	v_fma_f16 v84, v28, v13, -v60
	v_fma_f16 v30, v81, -0.5, v30
	v_add_f16_e32 v25, v25, v32
	v_fma_f16 v28, v77, s2, v26
	v_fma_f16 v26, v77, s5, v26
	v_mul_f16_sdwa v74, v61, v15 dst_sel:DWORD dst_unused:UNUSED_PAD src0_sel:DWORD src1_sel:WORD_1
	v_fma_f16 v83, v63, v12, v27
	v_fma_f16 v33, v33, v14, -v71
	v_fma_f16 v71, v65, v14, v72
	v_fma_f16 v72, v61, v15, -v73
	v_add_f16_e32 v27, v79, v80
	v_fma_f16 v61, v78, s5, v30
	v_add_f16_e32 v60, v25, v69
	v_fma_f16 v25, v78, s3, v28
	v_fma_f16 v26, v78, s14, v26
	;; [unrolled: 1-line block ×5, first 2 shown]
	v_sub_f16_e32 v27, v68, v67
	v_sub_f16_e32 v61, v32, v69
	v_fma_f16 v30, v78, s2, v30
	v_add_f16_e32 v27, v27, v61
	v_fma_f16 v30, v77, s14, v30
	v_fma_f16 v26, v27, s4, v26
	;; [unrolled: 1-line block ×3, first 2 shown]
	v_add_f16_e32 v30, v21, v29
	v_add_f16_e32 v30, v30, v36
	;; [unrolled: 1-line block ×5, first 2 shown]
	v_fma_f16 v30, v30, -0.5, v21
	v_sub_f16_e32 v65, v67, v69
	v_fma_f16 v85, v64, v13, v62
	v_fma_f16 v62, v65, s5, v30
	v_sub_f16_e32 v32, v68, v32
	v_sub_f16_e32 v63, v29, v36
	;; [unrolled: 1-line block ×3, first 2 shown]
	v_fma_f16 v30, v65, s2, v30
	v_fma_f16 v62, v32, s14, v62
	v_add_f16_e32 v63, v63, v64
	v_fma_f16 v30, v32, s3, v30
	v_fma_f16 v62, v63, s4, v62
	;; [unrolled: 1-line block ×3, first 2 shown]
	v_add_f16_e32 v30, v29, v70
	v_fma_f16 v21, v30, -0.5, v21
	v_fma_f16 v30, v32, s2, v21
	v_sub_f16_e32 v29, v36, v29
	v_sub_f16_e32 v36, v39, v70
	v_fma_f16 v21, v32, s5, v21
	v_add_f16_e32 v29, v29, v36
	v_fma_f16 v21, v65, s3, v21
	v_fma_f16 v30, v65, s14, v30
	;; [unrolled: 1-line block ×3, first 2 shown]
	v_add_f16_e32 v21, v31, v82
	v_add_f16_e32 v21, v21, v84
	;; [unrolled: 1-line block ×3, first 2 shown]
	v_fma_f16 v73, v66, v15, v74
	v_fma_f16 v64, v29, s4, v30
	v_add_f16_e32 v29, v21, v72
	v_add_f16_e32 v21, v84, v33
	v_fma_f16 v21, v21, -0.5, v31
	v_sub_f16_e32 v32, v83, v73
	v_fma_f16 v30, v32, s2, v21
	v_sub_f16_e32 v36, v85, v71
	v_sub_f16_e32 v39, v82, v84
	;; [unrolled: 1-line block ×3, first 2 shown]
	v_fma_f16 v21, v32, s5, v21
	v_fma_f16 v30, v36, s3, v30
	v_add_f16_e32 v39, v39, v66
	v_fma_f16 v21, v36, s14, v21
	v_fma_f16 v30, v39, s4, v30
	;; [unrolled: 1-line block ×3, first 2 shown]
	v_add_f16_e32 v39, v82, v72
	v_fma_f16 v39, v39, -0.5, v31
	v_fma_f16 v31, v36, s5, v39
	v_fma_f16 v36, v36, s2, v39
	v_fma_f16 v31, v32, s3, v31
	v_fma_f16 v32, v32, s14, v36
	v_add_f16_e32 v36, v34, v83
	v_sub_f16_e32 v66, v84, v82
	v_sub_f16_e32 v67, v33, v72
	v_add_f16_e32 v36, v36, v85
	v_add_f16_e32 v66, v66, v67
	;; [unrolled: 1-line block ×3, first 2 shown]
	v_fma_f16 v31, v66, s4, v31
	v_fma_f16 v32, v66, s4, v32
	v_add_f16_e32 v66, v36, v73
	v_add_f16_e32 v36, v85, v71
	v_fma_f16 v36, v36, -0.5, v34
	v_sub_f16_e32 v39, v82, v72
	v_fma_f16 v67, v39, s5, v36
	v_sub_f16_e32 v33, v84, v33
	v_sub_f16_e32 v68, v83, v85
	v_sub_f16_e32 v69, v73, v71
	v_fma_f16 v36, v39, s2, v36
	v_fma_f16 v67, v33, s14, v67
	v_add_f16_e32 v68, v68, v69
	v_fma_f16 v36, v33, s3, v36
	v_fma_f16 v67, v68, s4, v67
	;; [unrolled: 1-line block ×3, first 2 shown]
	v_add_f16_e32 v36, v83, v73
	v_fma_f16 v34, v36, -0.5, v34
	v_fma_f16 v36, v33, s2, v34
	v_sub_f16_e32 v69, v85, v83
	v_sub_f16_e32 v70, v71, v73
	v_fma_f16 v33, v33, s5, v34
	v_fma_f16 v36, v39, s14, v36
	v_add_f16_e32 v70, v69, v70
	v_fma_f16 v33, v39, s3, v33
	v_fma_f16 v69, v70, s4, v36
	;; [unrolled: 1-line block ×3, first 2 shown]
	v_lshl_add_u32 v39, v38, 2, v40
	v_pack_b32_f16 v33, v60, v61
	ds_write_b32 v39, v33
	v_pack_b32_f16 v33, v25, v62
	v_pack_b32_f16 v72, v29, v66
	;; [unrolled: 1-line block ×3, first 2 shown]
	ds_write2_b32 v39, v72, v33 offset0:91 offset1:182
	v_pack_b32_f16 v72, v30, v67
	v_add_u32_e32 v33, 0x400, v39
	v_pack_b32_f16 v36, v27, v65
	ds_write2_b32 v33, v72, v34 offset0:17 offset1:108
	v_pack_b32_f16 v72, v31, v69
	v_add_u32_e32 v34, 0x600, v39
	v_pack_b32_f16 v71, v28, v63
	ds_write2_b32 v34, v72, v36 offset0:71 offset1:162
	v_pack_b32_f16 v72, v32, v70
	v_add_u32_e32 v36, 0x800, v39
	ds_write2_b32 v36, v72, v71 offset0:125 offset1:216
	v_pack_b32_f16 v71, v21, v68
	ds_write_b32 v39, v71 offset:3276
	s_waitcnt lgkmcnt(0)
	s_barrier
	s_and_saveexec_b64 s[2:3], s[0:1]
	s_cbranch_execz .LBB0_13
; %bb.12:
	global_load_dword v71, v37, s[6:7] offset:3640
	s_add_u32 s4, s6, 0xe38
	s_addc_u32 s5, s7, 0
	global_load_dword v83, v37, s[4:5] offset:280
	global_load_dword v84, v37, s[4:5] offset:560
	;; [unrolled: 1-line block ×10, first 2 shown]
	ds_read_b32 v72, v39
	global_load_dword v95, v37, s[4:5] offset:3080
	global_load_dword v96, v37, s[4:5] offset:3360
	v_add_u32_e32 v93, 0x200, v39
	v_add_u32_e32 v94, 0xc00, v39
	s_waitcnt lgkmcnt(0)
	v_lshrrev_b32_e32 v73, 16, v72
	s_waitcnt vmcnt(12)
	v_mul_f16_sdwa v74, v73, v71 dst_sel:DWORD dst_unused:UNUSED_PAD src0_sel:DWORD src1_sel:WORD_1
	v_mul_f16_sdwa v75, v72, v71 dst_sel:DWORD dst_unused:UNUSED_PAD src0_sel:DWORD src1_sel:WORD_1
	v_fma_f16 v72, v72, v71, -v74
	v_fma_f16 v71, v73, v71, v75
	v_pack_b32_f16 v71, v72, v71
	ds_write_b32 v39, v71
	ds_read2_b32 v[71:72], v39 offset0:70 offset1:140
	ds_read2_b32 v[73:74], v93 offset0:82 offset1:152
	;; [unrolled: 1-line block ×6, first 2 shown]
	s_waitcnt lgkmcnt(5)
	v_lshrrev_b32_e32 v97, 16, v71
	s_waitcnt vmcnt(11)
	v_mul_f16_sdwa v98, v71, v83 dst_sel:DWORD dst_unused:UNUSED_PAD src0_sel:DWORD src1_sel:WORD_1
	v_lshrrev_b32_e32 v99, 16, v72
	s_waitcnt vmcnt(10)
	v_mul_f16_sdwa v100, v72, v84 dst_sel:DWORD dst_unused:UNUSED_PAD src0_sel:DWORD src1_sel:WORD_1
	s_waitcnt lgkmcnt(4)
	v_lshrrev_b32_e32 v101, 16, v73
	s_waitcnt vmcnt(9)
	v_mul_f16_sdwa v102, v73, v85 dst_sel:DWORD dst_unused:UNUSED_PAD src0_sel:DWORD src1_sel:WORD_1
	v_lshrrev_b32_e32 v103, 16, v74
	s_waitcnt vmcnt(8)
	v_mul_f16_sdwa v104, v74, v86 dst_sel:DWORD dst_unused:UNUSED_PAD src0_sel:DWORD src1_sel:WORD_1
	;; [unrolled: 7-line block ×4, first 2 shown]
	s_waitcnt lgkmcnt(1)
	v_lshrrev_b32_e32 v113, 16, v79
	s_waitcnt vmcnt(3)
	v_mul_f16_sdwa v114, v79, v91 dst_sel:DWORD dst_unused:UNUSED_PAD src0_sel:DWORD src1_sel:WORD_1
	v_lshrrev_b32_e32 v115, 16, v80
	v_mul_f16_sdwa v117, v97, v83 dst_sel:DWORD dst_unused:UNUSED_PAD src0_sel:DWORD src1_sel:WORD_1
	v_fma_f16 v97, v97, v83, v98
	v_mul_f16_sdwa v98, v99, v84 dst_sel:DWORD dst_unused:UNUSED_PAD src0_sel:DWORD src1_sel:WORD_1
	s_waitcnt vmcnt(2)
	v_mul_f16_sdwa v116, v80, v92 dst_sel:DWORD dst_unused:UNUSED_PAD src0_sel:DWORD src1_sel:WORD_1
	v_fma_f16 v99, v99, v84, v100
	v_mul_f16_sdwa v100, v101, v85 dst_sel:DWORD dst_unused:UNUSED_PAD src0_sel:DWORD src1_sel:WORD_1
	v_fma_f16 v101, v101, v85, v102
	;; [unrolled: 2-line block ×8, first 2 shown]
	v_mul_f16_sdwa v114, v115, v92 dst_sel:DWORD dst_unused:UNUSED_PAD src0_sel:DWORD src1_sel:WORD_1
	v_fma_f16 v71, v71, v83, -v117
	v_fma_f16 v72, v72, v84, -v98
	v_fma_f16 v115, v115, v92, v116
	v_fma_f16 v73, v73, v85, -v100
	v_fma_f16 v74, v74, v86, -v102
	;; [unrolled: 1-line block ×8, first 2 shown]
	v_pack_b32_f16 v71, v71, v97
	v_pack_b32_f16 v72, v72, v99
	;; [unrolled: 1-line block ×9, first 2 shown]
	ds_write2_b32 v39, v71, v72 offset0:70 offset1:140
	ds_write2_b32 v93, v73, v74 offset0:82 offset1:152
	;; [unrolled: 1-line block ×4, first 2 shown]
	v_pack_b32_f16 v33, v80, v115
	ds_write2_b32 v36, v79, v33 offset0:118 offset1:188
	s_waitcnt lgkmcnt(5)
	v_lshrrev_b32_e32 v33, 16, v81
	s_waitcnt vmcnt(1)
	v_mul_f16_sdwa v34, v33, v95 dst_sel:DWORD dst_unused:UNUSED_PAD src0_sel:DWORD src1_sel:WORD_1
	v_mul_f16_sdwa v36, v81, v95 dst_sel:DWORD dst_unused:UNUSED_PAD src0_sel:DWORD src1_sel:WORD_1
	v_fma_f16 v34, v81, v95, -v34
	v_fma_f16 v33, v33, v95, v36
	v_pack_b32_f16 v33, v34, v33
	v_lshrrev_b32_e32 v34, 16, v82
	s_waitcnt vmcnt(0)
	v_mul_f16_sdwa v36, v34, v96 dst_sel:DWORD dst_unused:UNUSED_PAD src0_sel:DWORD src1_sel:WORD_1
	v_mul_f16_sdwa v71, v82, v96 dst_sel:DWORD dst_unused:UNUSED_PAD src0_sel:DWORD src1_sel:WORD_1
	v_fma_f16 v36, v82, v96, -v36
	v_fma_f16 v34, v34, v96, v71
	v_pack_b32_f16 v34, v36, v34
	ds_write2_b32 v94, v33, v34 offset0:2 offset1:72
.LBB0_13:
	s_or_b64 exec, exec, s[2:3]
	s_waitcnt lgkmcnt(0)
	s_barrier
	s_and_saveexec_b64 s[2:3], s[0:1]
	s_cbranch_execz .LBB0_15
; %bb.14:
	v_add_u32_e32 v21, 0x200, v39
	ds_read_b32 v60, v39
	ds_read2_b32 v[25:26], v39 offset0:70 offset1:140
	ds_read2_b32 v[27:28], v21 offset0:82 offset1:152
	v_add_u32_e32 v21, 0x600, v39
	v_add_u32_e32 v22, 0x400, v39
	ds_read2_b32 v[31:32], v21 offset0:106 offset1:176
	v_add_u32_e32 v21, 0x800, v39
	v_add_u32_e32 v23, 0xc00, v39
	ds_read2_b32 v[29:30], v22 offset0:94 offset1:164
	ds_read2_b32 v[21:22], v21 offset0:118 offset1:188
	;; [unrolled: 1-line block ×3, first 2 shown]
	s_waitcnt lgkmcnt(6)
	v_lshrrev_b32_e32 v61, 16, v60
	s_waitcnt lgkmcnt(5)
	v_lshrrev_b32_e32 v62, 16, v25
	v_lshrrev_b32_e32 v64, 16, v26
	s_waitcnt lgkmcnt(4)
	v_lshrrev_b32_e32 v65, 16, v27
	;; [unrolled: 3-line block ×3, first 2 shown]
	v_lshrrev_b32_e32 v67, 16, v30
	v_lshrrev_b32_e32 v69, 16, v31
	;; [unrolled: 1-line block ×3, first 2 shown]
	s_waitcnt lgkmcnt(1)
	v_lshrrev_b32_e32 v68, 16, v21
	v_lshrrev_b32_e32 v57, 16, v22
	s_waitcnt lgkmcnt(0)
	v_lshrrev_b32_e32 v58, 16, v23
	v_lshrrev_b32_e32 v59, 16, v24
.LBB0_15:
	s_or_b64 exec, exec, s[2:3]
	v_sub_f16_e32 v112, v62, v59
	v_add_f16_e32 v84, v24, v25
	v_add_f16_e32 v89, v59, v62
	s_movk_i32 s4, 0x3b15
	v_mul_f16_e32 v74, 0xb770, v112
	v_sub_f16_e32 v119, v64, v58
	v_sub_f16_e32 v117, v25, v24
	s_mov_b32 s2, 0xb770
	v_mul_f16_e32 v75, 0x3b15, v89
	v_fma_f16 v33, v84, s4, -v74
	s_movk_i32 s5, 0x388b
	v_add_f16_e32 v93, v23, v26
	v_add_f16_e32 v97, v58, v64
	v_mul_f16_e32 v76, 0xba95, v119
	v_add_f16_e32 v33, v60, v33
	v_fma_f16 v34, v117, s2, v75
	s_mov_b32 s2, 0xba95
	v_mul_f16_e32 v77, 0xba95, v112
	v_sub_f16_e32 v124, v26, v23
	v_mul_f16_e32 v78, 0x388b, v97
	v_fma_f16 v80, v93, s5, -v76
	v_add_f16_e32 v34, v61, v34
	v_mul_f16_e32 v79, 0x388b, v89
	v_fma_f16 v36, v84, s5, -v77
	v_add_f16_e32 v33, v80, v33
	v_fma_f16 v80, v124, s2, v78
	s_mov_b32 s15, 0xb5ac
	v_mul_f16_e32 v81, 0xbb7b, v119
	v_add_f16_e32 v36, v60, v36
	v_fma_f16 v71, v117, s2, v79
	s_movk_i32 s14, 0x2fb7
	v_mul_f16_e32 v83, 0xbbf1, v112
	v_add_f16_e32 v34, v80, v34
	s_mov_b32 s17, 0xbb7b
	v_mul_f16_e32 v85, 0xb5ac, v97
	v_fma_f16 v80, v93, s15, -v81
	v_add_f16_e32 v71, v61, v71
	s_mov_b32 s3, 0xbbf1
	v_mul_f16_e32 v87, 0x2fb7, v89
	v_fma_f16 v72, v84, s14, -v83
	v_add_f16_e32 v36, v80, v36
	v_fma_f16 v80, v124, s17, v85
	s_mov_b32 s16, 0xbbc4
	v_mul_f16_e32 v91, 0xb3a8, v119
	v_add_f16_e32 v72, v60, v72
	v_fma_f16 v73, v117, s3, v87
	v_add_f16_e32 v71, v80, v71
	s_mov_b32 s18, 0xb3a8
	v_mul_f16_e32 v95, 0xbbc4, v97
	v_fma_f16 v80, v93, s16, -v91
	v_add_f16_e32 v73, v61, v73
	v_add_f16_e32 v72, v80, v72
	v_fma_f16 v80, v124, s18, v95
	v_sub_f16_e32 v125, v65, v57
	v_add_f16_e32 v73, v80, v73
	v_add_f16_e32 v102, v22, v27
	;; [unrolled: 1-line block ×3, first 2 shown]
	v_mul_f16_e32 v80, 0xbbf1, v125
	v_sub_f16_e32 v127, v27, v22
	v_mul_f16_e32 v82, 0x2fb7, v106
	v_fma_f16 v86, v102, s14, -v80
	v_add_f16_e32 v33, v86, v33
	v_fma_f16 v86, v127, s3, v82
	v_mul_f16_e32 v88, 0xb3a8, v125
	v_add_f16_e32 v34, v86, v34
	v_mul_f16_e32 v92, 0xbbc4, v106
	v_fma_f16 v86, v102, s16, -v88
	v_add_f16_e32 v36, v86, v36
	v_fma_f16 v86, v127, s18, v92
	v_mul_f16_e32 v99, 0x3b7b, v125
	v_add_f16_e32 v71, v86, v71
	s_movk_i32 s3, 0x3b7b
	v_mul_f16_e32 v103, 0xb5ac, v106
	v_fma_f16 v86, v102, s15, -v99
	v_add_f16_e32 v72, v86, v72
	v_fma_f16 v86, v127, s3, v103
	v_sub_f16_e32 v128, v63, v68
	v_add_f16_e32 v73, v86, v73
	v_add_f16_e32 v108, v21, v28
	;; [unrolled: 1-line block ×3, first 2 shown]
	v_mul_f16_e32 v86, 0xbb7b, v128
	v_sub_f16_e32 v129, v28, v21
	v_mul_f16_e32 v90, 0xb5ac, v113
	v_fma_f16 v94, v108, s15, -v86
	v_add_f16_e32 v33, v94, v33
	v_fma_f16 v94, v129, s17, v90
	s_mov_b32 s17, 0xb9fd
	v_mul_f16_e32 v96, 0x394e, v128
	v_add_f16_e32 v34, v94, v34
	s_movk_i32 s3, 0x394e
	v_mul_f16_e32 v100, 0xb9fd, v113
	v_fma_f16 v94, v108, s17, -v96
	v_add_f16_e32 v36, v94, v36
	v_fma_f16 v94, v129, s3, v100
	v_mul_f16_e32 v107, 0x3770, v128
	v_add_f16_e32 v71, v94, v71
	s_movk_i32 s3, 0x3770
	v_mul_f16_e32 v111, 0x3b15, v113
	v_fma_f16 v94, v108, s4, -v107
	v_add_f16_e32 v72, v94, v72
	v_fma_f16 v94, v129, s3, v111
	v_sub_f16_e32 v130, v66, v70
	v_add_f16_e32 v73, v94, v73
	v_add_f16_e32 v116, v32, v29
	;; [unrolled: 1-line block ×3, first 2 shown]
	v_mul_f16_e32 v94, 0xb94e, v130
	v_sub_f16_e32 v131, v29, v32
	s_mov_b32 s19, 0xb94e
	v_mul_f16_e32 v98, 0xb9fd, v120
	v_fma_f16 v101, v116, s17, -v94
	v_add_f16_e32 v33, v101, v33
	v_fma_f16 v101, v131, s19, v98
	v_mul_f16_e32 v104, 0x3bf1, v130
	v_add_f16_e32 v110, v101, v34
	s_movk_i32 s20, 0x3bf1
	v_mul_f16_e32 v109, 0x2fb7, v120
	v_fma_f16 v34, v116, s14, -v104
	v_add_f16_e32 v36, v34, v36
	v_fma_f16 v34, v131, s20, v109
	v_mul_f16_e32 v114, 0xba95, v130
	v_add_f16_e32 v121, v34, v71
	v_mul_f16_e32 v118, 0x388b, v120
	v_fma_f16 v34, v116, s5, -v114
	v_sub_f16_e32 v132, v67, v69
	v_add_f16_e32 v134, v34, v72
	v_fma_f16 v34, v131, s2, v118
	v_add_f16_e32 v122, v31, v30
	v_add_f16_e32 v126, v69, v67
	v_mul_f16_e32 v101, 0xb3a8, v132
	v_add_f16_e32 v73, v34, v73
	v_sub_f16_e32 v133, v30, v31
	v_mul_f16_e32 v105, 0xbbc4, v126
	v_fma_f16 v34, v122, s16, -v101
	v_add_f16_e32 v34, v34, v33
	v_fma_f16 v33, v133, s18, v105
	v_add_f16_e32 v71, v33, v110
	v_mul_f16_e32 v110, 0x3770, v132
	v_mul_f16_e32 v115, 0x3b15, v126
	v_fma_f16 v33, v122, s4, -v110
	v_add_f16_e32 v33, v33, v36
	v_fma_f16 v36, v133, s3, v115
	v_add_f16_e32 v72, v36, v121
	v_mul_f16_e32 v121, 0xb94e, v132
	v_mul_f16_e32 v123, 0xb9fd, v126
	v_fma_f16 v36, v122, s17, -v121
	v_add_f16_e32 v36, v36, v134
	v_fma_f16 v134, v133, s19, v123
	v_add_f16_e32 v73, v134, v73
	s_barrier
	s_and_saveexec_b64 s[2:3], s[0:1]
	s_cbranch_execz .LBB0_17
; %bb.16:
	v_mul_f16_e32 v170, 0xbb7b, v117
	v_fma_f16 v171, v89, s15, v170
	v_mul_f16_e32 v172, 0x394e, v124
	v_add_f16_e32 v171, v61, v171
	v_fma_f16 v173, v97, s17, v172
	v_add_f16_e32 v171, v173, v171
	v_mul_f16_e32 v173, 0x3770, v127
	v_fma_f16 v174, v106, s4, v173
	v_add_f16_e32 v171, v174, v171
	v_mul_f16_e32 v174, 0xbbf1, v129
	v_fma_f16 v175, v113, s14, v174
	v_add_f16_e32 v171, v175, v171
	v_mul_f16_e32 v175, 0x33a8, v131
	v_fma_f16 v176, v120, s16, v175
	v_add_f16_e32 v171, v176, v171
	v_mul_f16_e32 v176, 0x3a95, v133
	v_fma_f16 v177, v126, s5, v176
	v_add_f16_e32 v171, v177, v171
	v_mul_f16_e32 v177, 0xbb7b, v112
	v_fma_f16 v178, v84, s15, -v177
	v_mul_f16_e32 v179, 0x394e, v119
	v_add_f16_e32 v178, v60, v178
	v_fma_f16 v180, v93, s17, -v179
	v_add_f16_e32 v178, v180, v178
	v_mul_f16_e32 v180, 0x3770, v125
	v_fma_f16 v181, v102, s4, -v180
	v_add_f16_e32 v178, v181, v178
	v_mul_f16_e32 v181, 0xbbf1, v128
	;; [unrolled: 3-line block ×5, first 2 shown]
	v_fma_f16 v185, v89, s17, v184
	v_mul_f16_e32 v186, 0x3bf1, v124
	v_add_f16_e32 v185, v61, v185
	v_fma_f16 v187, v97, s14, v186
	v_add_f16_e32 v185, v187, v185
	v_mul_f16_e32 v187, 0xba95, v127
	v_fma_f16 v188, v106, s5, v187
	v_add_f16_e32 v185, v188, v185
	v_mul_f16_e32 v188, 0x33a8, v129
	v_fma_f16 v189, v113, s16, v188
	v_add_f16_e32 v185, v189, v185
	v_mul_f16_e32 v189, 0x3770, v131
	v_fma_f16 v190, v120, s4, v189
	v_add_f16_e32 v185, v190, v185
	v_mul_f16_e32 v190, 0xbb7b, v133
	v_fma_f16 v191, v126, s15, v190
	v_add_f16_e32 v185, v191, v185
	v_mul_f16_e32 v191, 0xb94e, v112
	v_fma_f16 v192, v84, s17, -v191
	v_mul_f16_e32 v193, 0x3bf1, v119
	v_add_f16_e32 v192, v60, v192
	v_fma_f16 v194, v93, s14, -v193
	v_add_f16_e32 v192, v194, v192
	v_mul_f16_e32 v194, 0xba95, v125
	v_fma_f16 v195, v102, s5, -v194
	v_add_f16_e32 v192, v195, v192
	v_mul_f16_e32 v195, 0x33a8, v128
	v_fma_f16 v196, v108, s16, -v195
	v_add_f16_e32 v192, v196, v192
	v_mul_f16_e32 v196, 0x3770, v130
	v_fma_f16 v197, v116, s4, -v196
	v_add_f16_e32 v192, v197, v192
	v_mul_f16_e32 v197, 0xbb7b, v132
	v_mul_f16_e32 v135, 0xb770, v117
	v_mul_f16_e32 v137, 0xba95, v117
	;; [unrolled: 1-line block ×3, first 2 shown]
	v_fma_f16 v198, v122, s15, -v197
	v_mul_f16_e32 v117, 0xb3a8, v117
	v_mul_f16_e32 v141, 0xba95, v124
	v_mul_f16_e32 v143, 0xbb7b, v124
	v_mul_f16_e32 v145, 0xb3a8, v124
	v_add_f16_e32 v192, v198, v192
	v_fma_f16 v198, v89, s16, v117
	v_mul_f16_e32 v124, 0x3770, v124
	v_mul_f16_e32 v147, 0xbbf1, v127
	v_mul_f16_e32 v149, 0xb3a8, v127
	v_mul_f16_e32 v151, 0x3b7b, v127
	v_add_f16_e32 v198, v61, v198
	v_fma_f16 v199, v97, s4, v124
	;; [unrolled: 6-line block ×5, first 2 shown]
	v_mul_f16_e32 v133, 0x3bf1, v133
	v_add_f16_e32 v198, v199, v198
	v_fma_f16 v199, v126, s14, v133
	v_mul_f16_e32 v112, 0xb3a8, v112
	v_add_f16_e32 v198, v199, v198
	v_fma_f16 v199, v84, s16, -v112
	v_mul_f16_e32 v119, 0x3770, v119
	v_fma_f16 v112, v84, s16, v112
	v_fma_f16 v200, v93, s4, -v119
	v_mul_f16_e32 v125, 0xb94e, v125
	v_fma_f16 v117, v89, s16, -v117
	v_add_f16_e32 v112, v60, v112
	v_fma_f16 v119, v93, s4, v119
	v_mul_f16_e32 v128, 0x3a95, v128
	v_add_f16_e32 v117, v61, v117
	v_fma_f16 v124, v97, s4, -v124
	v_add_f16_e32 v112, v119, v112
	v_fma_f16 v119, v102, s17, v125
	v_add_f16_e32 v25, v25, v60
	v_mul_f16_e32 v130, 0xbb7b, v130
	v_add_f16_e32 v117, v124, v117
	v_fma_f16 v124, v106, s17, -v127
	v_add_f16_e32 v112, v119, v112
	v_fma_f16 v119, v108, s5, v128
	v_add_f16_e32 v25, v26, v25
	;; [unrolled: 6-line block ×3, first 2 shown]
	v_add_f16_e32 v117, v124, v117
	v_fma_f16 v124, v120, s15, -v131
	v_add_f16_e32 v112, v119, v112
	v_fma_f16 v119, v122, s14, v132
	v_add_f16_e32 v25, v28, v25
	v_add_f16_e32 v117, v124, v117
	v_fma_f16 v124, v126, s14, -v133
	v_add_f16_e32 v112, v119, v112
	v_fma_f16 v119, v89, s17, -v184
	v_add_f16_e32 v25, v29, v25
	v_add_f16_e32 v117, v124, v117
	;; [unrolled: 1-line block ×3, first 2 shown]
	v_fma_f16 v124, v97, s14, -v186
	v_add_f16_e32 v25, v30, v25
	v_add_f16_e32 v119, v124, v119
	v_fma_f16 v124, v106, s5, -v187
	v_add_f16_e32 v25, v31, v25
	v_add_f16_e32 v119, v124, v119
	;; [unrolled: 3-line block ×5, first 2 shown]
	v_mul_f16_e32 v134, 0x3b15, v84
	v_mul_f16_e32 v136, 0x388b, v84
	;; [unrolled: 1-line block ×3, first 2 shown]
	v_add_f16_e32 v199, v60, v199
	v_add_f16_e32 v119, v124, v119
	v_fma_f16 v124, v84, s17, v191
	v_fma_f16 v84, v84, s15, v177
	v_add_f16_e32 v22, v64, v22
	v_mul_f16_e32 v140, 0x388b, v93
	v_mul_f16_e32 v142, 0xb5ac, v93
	;; [unrolled: 1-line block ×3, first 2 shown]
	v_add_f16_e32 v199, v200, v199
	v_fma_f16 v200, v102, s17, -v125
	v_fma_f16 v125, v93, s14, v193
	v_add_f16_e32 v84, v60, v84
	v_fma_f16 v93, v93, s17, v179
	v_add_f16_e32 v22, v65, v22
	v_add_f16_e32 v84, v93, v84
	v_fma_f16 v93, v102, s4, v180
	v_add_f16_e32 v22, v63, v22
	;; [unrolled: 3-line block ×3, first 2 shown]
	v_add_f16_e32 v84, v93, v84
	v_fma_f16 v93, v116, s16, v182
	v_sub_f16_e32 v75, v75, v135
	v_add_f16_e32 v74, v134, v74
	v_add_f16_e32 v22, v67, v22
	v_mul_f16_e32 v146, 0x2fb7, v102
	v_add_f16_e32 v84, v93, v84
	v_fma_f16 v93, v122, s5, v183
	v_sub_f16_e32 v87, v87, v139
	v_add_f16_e32 v83, v138, v83
	v_sub_f16_e32 v79, v79, v137
	v_add_f16_e32 v77, v136, v77
	v_add_f16_e32 v75, v61, v75
	v_sub_f16_e32 v78, v78, v141
	v_add_f16_e32 v74, v60, v74
	v_add_f16_e32 v76, v140, v76
	;; [unrolled: 1-line block ×3, first 2 shown]
	v_mul_f16_e32 v148, 0xbbc4, v102
	v_mul_f16_e32 v150, 0xb5ac, v102
	;; [unrolled: 1-line block ×3, first 2 shown]
	v_fma_f16 v89, v89, s15, -v170
	v_add_f16_e32 v84, v93, v84
	v_add_f16_e32 v87, v61, v87
	v_sub_f16_e32 v93, v95, v145
	v_add_f16_e32 v83, v60, v83
	v_add_f16_e32 v91, v144, v91
	v_add_f16_e32 v79, v61, v79
	v_sub_f16_e32 v85, v85, v143
	v_add_f16_e32 v77, v60, v77
	;; [unrolled: 4-line block ×3, first 2 shown]
	v_add_f16_e32 v76, v146, v80
	v_add_f16_e32 v22, v70, v22
	v_mul_f16_e32 v154, 0xb9fd, v108
	v_mul_f16_e32 v156, 0x3b15, v108
	;; [unrolled: 1-line block ×3, first 2 shown]
	v_add_f16_e32 v124, v60, v124
	v_add_f16_e32 v89, v61, v89
	v_fma_f16 v97, v97, s17, -v172
	v_add_f16_e32 v87, v93, v87
	v_sub_f16_e32 v93, v103, v151
	v_add_f16_e32 v83, v91, v83
	v_add_f16_e32 v91, v150, v99
	v_add_f16_e32 v79, v85, v79
	v_sub_f16_e32 v85, v92, v149
	v_add_f16_e32 v77, v81, v77
	v_add_f16_e32 v81, v148, v88
	;; [unrolled: 4-line block ×3, first 2 shown]
	v_add_f16_e32 v22, v68, v22
	v_mul_f16_e32 v160, 0x2fb7, v116
	v_mul_f16_e32 v162, 0x388b, v116
	;; [unrolled: 1-line block ×3, first 2 shown]
	v_add_f16_e32 v124, v125, v124
	v_fma_f16 v125, v102, s5, v194
	v_add_f16_e32 v89, v97, v89
	v_fma_f16 v97, v106, s4, -v173
	v_add_f16_e32 v87, v93, v87
	v_sub_f16_e32 v93, v111, v157
	v_add_f16_e32 v83, v91, v83
	v_add_f16_e32 v91, v156, v107
	v_add_f16_e32 v79, v85, v79
	v_sub_f16_e32 v85, v100, v155
	v_add_f16_e32 v77, v81, v77
	v_add_f16_e32 v81, v154, v96
	;; [unrolled: 4-line block ×3, first 2 shown]
	v_add_f16_e32 v22, v57, v22
	v_mul_f16_e32 v166, 0x3b15, v122
	v_mul_f16_e32 v168, 0xb9fd, v122
	v_add_f16_e32 v124, v125, v124
	v_fma_f16 v125, v108, s16, v195
	v_add_f16_e32 v89, v97, v89
	v_fma_f16 v97, v113, s14, -v174
	v_add_f16_e32 v87, v93, v87
	v_sub_f16_e32 v93, v118, v163
	v_add_f16_e32 v83, v91, v83
	v_add_f16_e32 v91, v162, v114
	v_add_f16_e32 v79, v85, v79
	v_sub_f16_e32 v85, v109, v161
	v_add_f16_e32 v77, v81, v77
	v_add_f16_e32 v81, v160, v104
	;; [unrolled: 4-line block ×3, first 2 shown]
	v_add_f16_e32 v21, v23, v21
	v_add_f16_e32 v22, v58, v22
	;; [unrolled: 1-line block ×3, first 2 shown]
	v_fma_f16 v200, v108, s5, -v128
	v_add_f16_e32 v124, v125, v124
	v_fma_f16 v125, v116, s4, v196
	v_add_f16_e32 v89, v97, v89
	v_fma_f16 v97, v120, s16, -v175
	v_add_f16_e32 v87, v93, v87
	v_sub_f16_e32 v93, v123, v169
	v_add_f16_e32 v83, v91, v83
	v_add_f16_e32 v91, v168, v121
	;; [unrolled: 1-line block ×3, first 2 shown]
	v_sub_f16_e32 v85, v115, v167
	v_add_f16_e32 v77, v81, v77
	v_add_f16_e32 v81, v166, v110
	;; [unrolled: 1-line block ×7, first 2 shown]
	v_fma_f16 v200, v116, s15, -v130
	v_add_f16_e32 v124, v125, v124
	v_fma_f16 v125, v122, s15, v197
	v_add_f16_e32 v89, v97, v89
	v_fma_f16 v97, v126, s5, -v176
	v_add_f16_e32 v87, v93, v87
	v_add_f16_e32 v83, v91, v83
	v_add_f16_e32 v79, v85, v79
	v_add_f16_e32 v77, v81, v77
	v_lshl_add_u32 v23, v35, 2, v40
	v_pack_b32_f16 v24, v74, v75
	v_pack_b32_f16 v21, v21, v22
	v_add_f16_e32 v199, v200, v199
	v_fma_f16 v200, v122, s14, -v132
	v_add_f16_e32 v124, v125, v124
	v_add_f16_e32 v89, v97, v89
	ds_write2_b32 v23, v21, v24 offset1:1
	v_pack_b32_f16 v21, v83, v87
	v_pack_b32_f16 v22, v77, v79
	v_add_f16_e32 v199, v200, v199
	ds_write2_b32 v23, v22, v21 offset0:2 offset1:3
	v_pack_b32_f16 v21, v124, v119
	v_pack_b32_f16 v22, v84, v89
	ds_write2_b32 v23, v22, v21 offset0:4 offset1:5
	v_pack_b32_f16 v21, v199, v198
	v_pack_b32_f16 v22, v112, v117
	ds_write2_b32 v23, v22, v21 offset0:6 offset1:7
	v_pack_b32_f16 v21, v178, v171
	v_pack_b32_f16 v22, v192, v185
	s_mov_b32 s4, 0x5040100
	ds_write2_b32 v23, v22, v21 offset0:8 offset1:9
	v_perm_b32 v21, v72, v33, s4
	v_perm_b32 v22, v73, v36, s4
	ds_write2_b32 v23, v22, v21 offset0:10 offset1:11
	v_perm_b32 v21, v71, v34, s4
	ds_write_b32 v23, v21 offset:48
.LBB0_17:
	s_or_b64 exec, exec, s[2:3]
	v_add_u32_e32 v57, 0x400, v41
	s_waitcnt lgkmcnt(0)
	s_barrier
	ds_read2_b32 v[23:24], v57 offset0:108 offset1:199
	v_add_u32_e32 v30, 0xa00, v41
	v_add_u32_e32 v29, 0x800, v41
	ds_read2_b32 v[30:31], v30 offset0:88 offset1:179
	ds_read2_b32 v[25:26], v29 offset0:34 offset1:125
	s_waitcnt lgkmcnt(2)
	v_lshrrev_b32_e32 v35, 16, v24
	ds_read2_b32 v[21:22], v41 offset1:91
	v_mul_f16_sdwa v66, v45, v35 dst_sel:DWORD dst_unused:UNUSED_PAD src0_sel:WORD_1 src1_sel:DWORD
	v_add_u32_e32 v27, 0x200, v41
	s_waitcnt lgkmcnt(2)
	v_lshrrev_b32_e32 v63, 16, v30
	v_fma_f16 v66, v45, v24, v66
	v_mul_f16_sdwa v24, v45, v24 dst_sel:DWORD dst_unused:UNUSED_PAD src0_sel:WORD_1 src1_sel:DWORD
	ds_read2_b32 v[27:28], v27 offset0:54 offset1:145
	s_waitcnt lgkmcnt(2)
	v_lshrrev_b32_e32 v59, 16, v25
	v_fma_f16 v24, v45, v35, -v24
	v_mul_f16_sdwa v45, v47, v63 dst_sel:DWORD dst_unused:UNUSED_PAD src0_sel:WORD_1 src1_sel:DWORD
	v_lshrrev_b32_e32 v65, 16, v31
	v_mul_f16_sdwa v35, v44, v59 dst_sel:DWORD dst_unused:UNUSED_PAD src0_sel:WORD_1 src1_sel:DWORD
	v_fma_f16 v45, v47, v30, v45
	v_mul_f16_sdwa v30, v47, v30 dst_sel:DWORD dst_unused:UNUSED_PAD src0_sel:WORD_1 src1_sel:DWORD
	v_lshrrev_b32_e32 v61, 16, v26
	v_fma_f16 v35, v44, v25, v35
	v_mul_f16_sdwa v25, v44, v25 dst_sel:DWORD dst_unused:UNUSED_PAD src0_sel:WORD_1 src1_sel:DWORD
	v_fma_f16 v30, v47, v63, -v30
	v_mul_f16_sdwa v47, v46, v65 dst_sel:DWORD dst_unused:UNUSED_PAD src0_sel:WORD_1 src1_sel:DWORD
	s_waitcnt lgkmcnt(1)
	v_lshrrev_b32_e32 v32, 16, v21
	v_fma_f16 v25, v44, v59, -v25
	v_mul_f16_sdwa v44, v48, v61 dst_sel:DWORD dst_unused:UNUSED_PAD src0_sel:WORD_1 src1_sel:DWORD
	v_fma_f16 v47, v46, v31, v47
	v_mul_f16_sdwa v31, v46, v31 dst_sel:DWORD dst_unused:UNUSED_PAD src0_sel:WORD_1 src1_sel:DWORD
	v_lshrrev_b32_e32 v58, 16, v22
	v_fma_f16 v44, v48, v26, v44
	v_mul_f16_sdwa v26, v48, v26 dst_sel:DWORD dst_unused:UNUSED_PAD src0_sel:WORD_1 src1_sel:DWORD
	v_fma_f16 v31, v46, v65, -v31
	v_sub_f16_e32 v46, v21, v66
	v_sub_f16_e32 v24, v32, v24
	s_waitcnt lgkmcnt(0)
	v_lshrrev_b32_e32 v60, 16, v27
	v_fma_f16 v26, v48, v61, -v26
	v_fma_f16 v48, v21, 2.0, -v46
	v_fma_f16 v59, v32, 2.0, -v24
	v_sub_f16_e32 v61, v22, v35
	v_sub_f16_e32 v25, v58, v25
	;; [unrolled: 1-line block ×3, first 2 shown]
	v_lshrrev_b32_e32 v62, 16, v28
	v_lshrrev_b32_e32 v64, 16, v23
	v_fma_f16 v63, v22, 2.0, -v61
	v_fma_f16 v58, v58, 2.0, -v25
	v_sub_f16_e32 v44, v27, v44
	v_sub_f16_e32 v26, v60, v26
	v_fma_f16 v22, v23, 2.0, -v35
	v_pack_b32_f16 v23, v48, v59
	v_pack_b32_f16 v24, v46, v24
	v_fma_f16 v27, v27, 2.0, -v44
	v_fma_f16 v60, v60, 2.0, -v26
	v_sub_f16_e32 v21, v28, v45
	v_sub_f16_e32 v30, v62, v30
	s_barrier
	ds_write2_b32 v49, v23, v24 offset1:13
	v_pack_b32_f16 v23, v63, v58
	v_pack_b32_f16 v24, v61, v25
	v_fma_f16 v28, v28, 2.0, -v21
	v_fma_f16 v45, v62, 2.0, -v30
	v_sub_f16_e32 v31, v64, v31
	ds_write2_b32 v50, v23, v24 offset1:13
	v_pack_b32_f16 v23, v27, v60
	v_pack_b32_f16 v24, v44, v26
	v_fma_f16 v32, v64, 2.0, -v31
	ds_write2_b32 v51, v23, v24 offset1:13
	v_pack_b32_f16 v23, v28, v45
	v_pack_b32_f16 v24, v21, v30
	ds_write2_b32 v52, v23, v24 offset1:13
	v_pack_b32_f16 v23, v22, v32
	v_pack_b32_f16 v24, v35, v31
	ds_write2_b32 v53, v23, v24 offset1:13
	s_waitcnt lgkmcnt(0)
	s_barrier
	ds_read2_b32 v[23:24], v41 offset1:130
	ds_read2_b32 v[27:28], v57 offset0:4 offset1:134
	ds_read2_b32 v[25:26], v29 offset0:8 offset1:138
	ds_read_b32 v44, v41 offset:3120
	s_and_saveexec_b64 s[2:3], vcc
	s_cbranch_execz .LBB0_19
; %bb.18:
	ds_read2_b32 v[21:22], v41 offset0:91 offset1:221
	ds_read2_b32 v[35:36], v57 offset0:95 offset1:225
	;; [unrolled: 1-line block ×3, first 2 shown]
	ds_read_b32 v54, v41 offset:3484
	s_waitcnt lgkmcnt(3)
	v_lshrrev_b32_e32 v30, 16, v21
	v_lshrrev_b32_e32 v32, 16, v22
	s_waitcnt lgkmcnt(2)
	v_lshrrev_b32_e32 v31, 16, v35
	v_lshrrev_b32_e32 v73, 16, v36
	;; [unrolled: 3-line block ×3, first 2 shown]
	s_waitcnt lgkmcnt(0)
	v_lshrrev_b32_e32 v55, 16, v54
.LBB0_19:
	s_or_b64 exec, exec, s[2:3]
	s_waitcnt lgkmcnt(3)
	v_lshrrev_b32_e32 v45, 16, v24
	v_mul_f16_sdwa v51, v4, v45 dst_sel:DWORD dst_unused:UNUSED_PAD src0_sel:WORD_1 src1_sel:DWORD
	s_waitcnt lgkmcnt(2)
	v_lshrrev_b32_e32 v46, 16, v27
	v_fma_f16 v51, v4, v24, v51
	v_mul_f16_sdwa v24, v4, v24 dst_sel:DWORD dst_unused:UNUSED_PAD src0_sel:WORD_1 src1_sel:DWORD
	v_fma_f16 v4, v4, v45, -v24
	v_mul_f16_sdwa v24, v5, v46 dst_sel:DWORD dst_unused:UNUSED_PAD src0_sel:WORD_1 src1_sel:DWORD
	v_lshrrev_b32_e32 v47, 16, v28
	v_fma_f16 v24, v5, v27, v24
	v_mul_f16_sdwa v27, v5, v27 dst_sel:DWORD dst_unused:UNUSED_PAD src0_sel:WORD_1 src1_sel:DWORD
	v_fma_f16 v5, v5, v46, -v27
	v_mul_f16_sdwa v27, v6, v47 dst_sel:DWORD dst_unused:UNUSED_PAD src0_sel:WORD_1 src1_sel:DWORD
	s_waitcnt lgkmcnt(1)
	v_lshrrev_b32_e32 v48, 16, v25
	v_fma_f16 v27, v6, v28, v27
	v_mul_f16_sdwa v28, v6, v28 dst_sel:DWORD dst_unused:UNUSED_PAD src0_sel:WORD_1 src1_sel:DWORD
	v_fma_f16 v6, v6, v47, -v28
	v_mul_f16_sdwa v28, v7, v48 dst_sel:DWORD dst_unused:UNUSED_PAD src0_sel:WORD_1 src1_sel:DWORD
	v_lshrrev_b32_e32 v49, 16, v26
	v_fma_f16 v28, v7, v25, v28
	v_mul_f16_sdwa v25, v7, v25 dst_sel:DWORD dst_unused:UNUSED_PAD src0_sel:WORD_1 src1_sel:DWORD
	v_fma_f16 v7, v7, v48, -v25
	v_mul_f16_sdwa v25, v19, v49 dst_sel:DWORD dst_unused:UNUSED_PAD src0_sel:WORD_1 src1_sel:DWORD
	s_waitcnt lgkmcnt(0)
	v_lshrrev_b32_e32 v50, 16, v44
	v_fma_f16 v25, v19, v26, v25
	v_mul_f16_sdwa v26, v19, v26 dst_sel:DWORD dst_unused:UNUSED_PAD src0_sel:WORD_1 src1_sel:DWORD
	v_fma_f16 v19, v19, v49, -v26
	v_mul_f16_sdwa v26, v20, v50 dst_sel:DWORD dst_unused:UNUSED_PAD src0_sel:WORD_1 src1_sel:DWORD
	v_fma_f16 v26, v20, v44, v26
	v_mul_f16_sdwa v44, v20, v44 dst_sel:DWORD dst_unused:UNUSED_PAD src0_sel:WORD_1 src1_sel:DWORD
	v_fma_f16 v20, v20, v50, -v44
	v_add_f16_e32 v44, v51, v26
	v_add_f16_e32 v45, v4, v20
	v_sub_f16_e32 v4, v4, v20
	v_add_f16_e32 v20, v24, v25
	v_add_f16_e32 v46, v5, v19
	v_sub_f16_e32 v26, v51, v26
	v_sub_f16_e32 v24, v24, v25
	;; [unrolled: 1-line block ×3, first 2 shown]
	v_add_f16_e32 v19, v27, v28
	v_add_f16_e32 v25, v6, v7
	v_sub_f16_e32 v27, v28, v27
	v_sub_f16_e32 v6, v7, v6
	v_add_f16_e32 v7, v20, v44
	v_add_f16_e32 v28, v46, v45
	v_sub_f16_e32 v47, v20, v44
	v_sub_f16_e32 v48, v46, v45
	;; [unrolled: 1-line block ×6, first 2 shown]
	v_add_f16_e32 v49, v27, v24
	v_add_f16_e32 v50, v6, v5
	v_sub_f16_e32 v51, v27, v24
	v_sub_f16_e32 v52, v6, v5
	;; [unrolled: 1-line block ×4, first 2 shown]
	v_add_f16_e32 v7, v19, v7
	v_add_f16_e32 v19, v25, v28
	v_sub_f16_e32 v27, v26, v27
	v_sub_f16_e32 v6, v4, v6
	v_add_f16_e32 v25, v49, v26
	v_add_f16_e32 v4, v50, v4
	;; [unrolled: 1-line block ×3, first 2 shown]
	v_add_f16_sdwa v23, v23, v19 dst_sel:DWORD dst_unused:UNUSED_PAD src0_sel:WORD_1 src1_sel:DWORD
	v_mul_f16_e32 v28, 0x3a52, v44
	v_mul_f16_e32 v44, 0x3a52, v45
	s_movk_i32 s17, 0x2b26
	v_mul_f16_e32 v45, 0x2b26, v20
	v_mul_f16_e32 v49, 0x2b26, v46
	;; [unrolled: 1-line block ×4, first 2 shown]
	s_mov_b32 s4, 0xbb00
	v_mul_f16_e32 v52, 0xbb00, v24
	v_mul_f16_e32 v53, 0xbb00, v5
	s_mov_b32 s18, 0xbcab
	s_movk_i32 s5, 0x39e0
	s_mov_b32 s14, 0xb9e0
	s_mov_b32 s19, 0xb574
	s_movk_i32 s15, 0x3574
	v_fma_f16 v7, v7, s18, v26
	v_fma_f16 v19, v19, s18, v23
	;; [unrolled: 1-line block ×4, first 2 shown]
	v_fma_f16 v45, v47, s5, -v45
	v_fma_f16 v49, v48, s5, -v49
	;; [unrolled: 1-line block ×4, first 2 shown]
	v_fma_f16 v47, v27, s19, v50
	v_fma_f16 v48, v6, s19, v51
	v_fma_f16 v24, v24, s4, -v50
	v_fma_f16 v5, v5, s4, -v51
	;; [unrolled: 1-line block ×4, first 2 shown]
	s_mov_b32 s16, 0xb70e
	v_add_f16_e32 v20, v20, v7
	v_add_f16_e32 v46, v46, v19
	;; [unrolled: 1-line block ×6, first 2 shown]
	v_fma_f16 v28, v25, s16, v47
	v_fma_f16 v44, v4, s16, v48
	;; [unrolled: 1-line block ×6, first 2 shown]
	v_add_f16_e32 v6, v44, v20
	v_sub_f16_e32 v27, v46, v28
	v_add_f16_e32 v47, v4, v7
	v_sub_f16_e32 v50, v45, v5
	v_add_f16_e32 v51, v24, v49
	v_add_f16_e32 v5, v5, v45
	v_sub_f16_e32 v24, v49, v24
	v_sub_f16_e32 v4, v7, v4
	v_add_f16_e32 v7, v25, v19
	v_sub_f16_e32 v48, v19, v25
	v_sub_f16_e32 v19, v20, v44
	v_add_f16_e32 v20, v28, v46
	v_pack_b32_f16 v23, v26, v23
	v_pack_b32_f16 v6, v6, v27
	;; [unrolled: 1-line block ×4, first 2 shown]
	v_add_u32_e32 v29, 0x16c, v39
	s_barrier
	ds_write2_b32 v56, v23, v6 offset1:26
	v_pack_b32_f16 v6, v47, v48
	v_pack_b32_f16 v23, v50, v51
	ds_write2_b32 v56, v5, v4 offset0:104 offset1:130
	v_pack_b32_f16 v4, v19, v20
	ds_write2_b32 v56, v6, v23 offset0:52 offset1:78
	ds_write_b32 v56, v4 offset:624
	s_and_saveexec_b64 s[2:3], vcc
	s_cbranch_execz .LBB0_21
; %bb.20:
	v_mul_f16_sdwa v4, v0, v32 dst_sel:DWORD dst_unused:UNUSED_PAD src0_sel:WORD_1 src1_sel:DWORD
	v_fma_f16 v4, v0, v22, v4
	v_mul_f16_sdwa v25, v17, v71 dst_sel:DWORD dst_unused:UNUSED_PAD src0_sel:WORD_1 src1_sel:DWORD
	v_mul_f16_sdwa v22, v0, v22 dst_sel:DWORD dst_unused:UNUSED_PAD src0_sel:WORD_1 src1_sel:DWORD
	;; [unrolled: 1-line block ×3, first 2 shown]
	v_fma_f16 v25, v17, v34, v25
	v_fma_f16 v0, v0, v32, -v22
	v_mul_f16_sdwa v32, v2, v36 dst_sel:DWORD dst_unused:UNUSED_PAD src0_sel:WORD_1 src1_sel:DWORD
	v_mul_f16_sdwa v34, v17, v34 dst_sel:DWORD dst_unused:UNUSED_PAD src0_sel:WORD_1 src1_sel:DWORD
	;; [unrolled: 1-line block ×4, first 2 shown]
	v_fma_f16 v19, v2, v36, v19
	v_mul_f16_sdwa v24, v1, v31 dst_sel:DWORD dst_unused:UNUSED_PAD src0_sel:WORD_1 src1_sel:DWORD
	v_mul_f16_sdwa v44, v18, v54 dst_sel:DWORD dst_unused:UNUSED_PAD src0_sel:WORD_1 src1_sel:DWORD
	v_fma_f16 v2, v2, v73, -v32
	v_mul_f16_sdwa v32, v3, v33 dst_sel:DWORD dst_unused:UNUSED_PAD src0_sel:WORD_1 src1_sel:DWORD
	v_fma_f16 v17, v17, v71, -v34
	v_mul_f16_sdwa v34, v1, v35 dst_sel:DWORD dst_unused:UNUSED_PAD src0_sel:WORD_1 src1_sel:DWORD
	v_fma_f16 v5, v18, v54, v5
	v_fma_f16 v7, v3, v33, v7
	;; [unrolled: 1-line block ×3, first 2 shown]
	v_fma_f16 v18, v18, v55, -v44
	v_fma_f16 v3, v3, v72, -v32
	;; [unrolled: 1-line block ×3, first 2 shown]
	v_add_f16_e32 v22, v18, v0
	v_add_f16_e32 v32, v2, v3
	;; [unrolled: 1-line block ×3, first 2 shown]
	v_sub_f16_e32 v0, v0, v18
	v_sub_f16_e32 v2, v3, v2
	;; [unrolled: 1-line block ×6, first 2 shown]
	v_add_f16_e32 v4, v5, v4
	v_add_f16_e32 v5, v19, v7
	;; [unrolled: 1-line block ×3, first 2 shown]
	v_sub_f16_e32 v3, v0, v2
	v_sub_f16_e32 v17, v2, v1
	v_add_f16_e32 v2, v2, v1
	v_sub_f16_e32 v23, v6, v20
	v_sub_f16_e32 v27, v20, v26
	v_add_f16_e32 v20, v20, v26
	v_add_f16_e32 v36, v31, v22
	;; [unrolled: 1-line block ×4, first 2 shown]
	v_sub_f16_e32 v0, v1, v0
	v_add_f16_e32 v20, v20, v6
	v_sub_f16_e32 v33, v22, v32
	v_sub_f16_e32 v34, v32, v31
	v_add_f16_e32 v32, v32, v36
	v_sub_f16_e32 v7, v4, v5
	v_sub_f16_e32 v24, v5, v19
	v_add_f16_e32 v5, v5, v44
	v_mul_f16_e32 v17, 0x3846, v17
	v_sub_f16_e32 v6, v26, v6
	v_mul_f16_e32 v1, 0xbb00, v0
	v_mul_f16_e32 v27, 0x3846, v27
	;; [unrolled: 1-line block ×4, first 2 shown]
	v_add_f16_e32 v30, v30, v32
	v_mul_f16_e32 v7, 0x3a52, v7
	v_mul_f16_e32 v25, 0x2b26, v24
	v_add_f16_e32 v21, v21, v5
	v_fma_f16 v18, v3, s19, v17
	v_mul_f16_e32 v26, 0xbb00, v6
	v_sub_f16_e32 v22, v31, v22
	v_sub_f16_e32 v4, v19, v4
	v_fma_f16 v1, v3, s15, -v1
	v_fma_f16 v0, v0, s4, -v17
	v_fma_f16 v28, v23, s19, v27
	v_fma_f16 v32, v32, s18, v30
	;; [unrolled: 1-line block ×5, first 2 shown]
	v_fma_f16 v23, v23, s15, -v26
	v_fma_f16 v26, v22, s14, -v33
	;; [unrolled: 1-line block ×3, first 2 shown]
	v_fma_f16 v1, v2, s16, v1
	v_fma_f16 v19, v22, s5, -v35
	v_fma_f16 v6, v6, s4, -v27
	v_fma_f16 v0, v2, s16, v0
	v_fma_f16 v2, v4, s5, -v25
	v_fma_f16 v23, v20, s16, v23
	v_add_f16_e32 v26, v26, v32
	v_add_f16_e32 v7, v7, v5
	;; [unrolled: 1-line block ×3, first 2 shown]
	v_fma_f16 v6, v20, s16, v6
	v_add_f16_e32 v2, v2, v5
	v_mul_u32_u24_e32 v17, 0xb6, v42
	v_fma_f16 v34, v34, s17, v33
	v_add_f16_e32 v24, v24, v5
	v_sub_f16_e32 v3, v7, v1
	v_add_f16_e32 v4, v0, v2
	v_add_f16_e32 v5, v6, v19
	v_sub_f16_e32 v0, v2, v0
	v_sub_f16_e32 v2, v26, v23
	v_add_f16_e32 v1, v1, v7
	v_add_u32_e32 v17, v17, v43
	v_fma_f16 v28, v20, s16, v28
	v_add_f16_e32 v34, v34, v32
	v_add_f16_e32 v31, v23, v26
	v_sub_f16_e32 v20, v19, v6
	v_lshl_add_u32 v17, v17, 2, v40
	v_pack_b32_f16 v1, v1, v2
	v_pack_b32_f16 v0, v0, v5
	v_add_f16_e32 v36, v28, v34
	v_sub_f16_e32 v44, v24, v18
	v_sub_f16_e32 v6, v34, v28
	v_add_f16_e32 v7, v18, v24
	ds_write2_b32 v17, v1, v0 offset0:52 offset1:78
	v_pack_b32_f16 v0, v4, v20
	v_pack_b32_f16 v1, v3, v31
	;; [unrolled: 1-line block ×4, first 2 shown]
	ds_write2_b32 v17, v0, v1 offset0:104 offset1:130
	v_pack_b32_f16 v0, v44, v36
	ds_write2_b32 v17, v18, v6 offset1:26
	ds_write_b32 v17, v0 offset:624
.LBB0_21:
	s_or_b64 exec, exec, s[2:3]
	v_add_u32_e32 v2, 0x200, v41
	s_waitcnt lgkmcnt(0)
	s_barrier
	ds_read2_b32 v[2:3], v2 offset0:54 offset1:145
	v_add_u32_e32 v4, 0x400, v41
	ds_read2_b32 v[4:5], v4 offset0:108 offset1:199
	v_add_u32_e32 v6, 0x800, v41
	;; [unrolled: 2-line block ×3, first 2 shown]
	s_waitcnt lgkmcnt(2)
	v_lshrrev_b32_e32 v20, 16, v2
	ds_read2_b32 v[17:18], v17 offset0:88 offset1:179
	v_mul_f16_sdwa v30, v8, v20 dst_sel:DWORD dst_unused:UNUSED_PAD src0_sel:WORD_1 src1_sel:DWORD
	s_waitcnt lgkmcnt(2)
	v_lshrrev_b32_e32 v21, 16, v4
	v_fma_f16 v30, v8, v2, v30
	v_mul_f16_sdwa v2, v8, v2 dst_sel:DWORD dst_unused:UNUSED_PAD src0_sel:WORD_1 src1_sel:DWORD
	v_fma_f16 v2, v8, v20, -v2
	v_mul_f16_sdwa v8, v9, v21 dst_sel:DWORD dst_unused:UNUSED_PAD src0_sel:WORD_1 src1_sel:DWORD
	s_waitcnt lgkmcnt(1)
	v_lshrrev_b32_e32 v22, 16, v6
	v_fma_f16 v8, v9, v4, v8
	v_mul_f16_sdwa v4, v9, v4 dst_sel:DWORD dst_unused:UNUSED_PAD src0_sel:WORD_1 src1_sel:DWORD
	v_fma_f16 v4, v9, v21, -v4
	;; [unrolled: 6-line block ×3, first 2 shown]
	v_mul_f16_sdwa v10, v11, v23 dst_sel:DWORD dst_unused:UNUSED_PAD src0_sel:WORD_1 src1_sel:DWORD
	v_lshrrev_b32_e32 v25, 16, v3
	v_fma_f16 v10, v11, v17, v10
	v_mul_f16_sdwa v17, v11, v17 dst_sel:DWORD dst_unused:UNUSED_PAD src0_sel:WORD_1 src1_sel:DWORD
	ds_read2_b32 v[0:1], v41 offset1:91
	v_fma_f16 v11, v11, v23, -v17
	v_mul_f16_sdwa v17, v12, v25 dst_sel:DWORD dst_unused:UNUSED_PAD src0_sel:WORD_1 src1_sel:DWORD
	v_lshrrev_b32_e32 v26, 16, v5
	v_fma_f16 v17, v12, v3, v17
	v_mul_f16_sdwa v3, v12, v3 dst_sel:DWORD dst_unused:UNUSED_PAD src0_sel:WORD_1 src1_sel:DWORD
	v_fma_f16 v3, v12, v25, -v3
	v_mul_f16_sdwa v12, v13, v26 dst_sel:DWORD dst_unused:UNUSED_PAD src0_sel:WORD_1 src1_sel:DWORD
	v_lshrrev_b32_e32 v27, 16, v7
	v_fma_f16 v12, v13, v5, v12
	v_mul_f16_sdwa v5, v13, v5 dst_sel:DWORD dst_unused:UNUSED_PAD src0_sel:WORD_1 src1_sel:DWORD
	v_fma_f16 v5, v13, v26, -v5
	v_mul_f16_sdwa v13, v14, v27 dst_sel:DWORD dst_unused:UNUSED_PAD src0_sel:WORD_1 src1_sel:DWORD
	v_add_f16_e32 v20, v8, v9
	v_lshrrev_b32_e32 v28, 16, v18
	v_fma_f16 v13, v14, v7, v13
	v_mul_f16_sdwa v7, v14, v7 dst_sel:DWORD dst_unused:UNUSED_PAD src0_sel:WORD_1 src1_sel:DWORD
	s_waitcnt lgkmcnt(0)
	v_fma_f16 v20, v20, -0.5, v0
	v_sub_f16_e32 v21, v2, v11
	s_mov_b32 s2, 0xbb9c
	s_movk_i32 s5, 0x3b9c
	v_fma_f16 v7, v14, v27, -v7
	v_mul_f16_sdwa v14, v15, v28 dst_sel:DWORD dst_unused:UNUSED_PAD src0_sel:WORD_1 src1_sel:DWORD
	v_fma_f16 v22, v21, s2, v20
	v_sub_f16_e32 v23, v4, v6
	s_mov_b32 s3, 0xb8b4
	v_sub_f16_e32 v25, v30, v8
	v_sub_f16_e32 v26, v10, v9
	v_fma_f16 v20, v21, s5, v20
	s_movk_i32 s14, 0x38b4
	v_fma_f16 v14, v15, v18, v14
	v_mul_f16_sdwa v18, v15, v18 dst_sel:DWORD dst_unused:UNUSED_PAD src0_sel:WORD_1 src1_sel:DWORD
	v_fma_f16 v22, v23, s3, v22
	v_add_f16_e32 v25, v25, v26
	s_movk_i32 s4, 0x34f2
	v_fma_f16 v20, v23, s14, v20
	v_fma_f16 v15, v15, v28, -v18
	v_add_f16_e32 v18, v0, v30
	v_fma_f16 v22, v25, s4, v22
	v_fma_f16 v20, v25, s4, v20
	v_add_f16_e32 v25, v30, v10
	v_lshrrev_b32_e32 v19, 16, v0
	v_add_f16_e32 v18, v18, v8
	v_fma_f16 v0, v25, -0.5, v0
	v_add_f16_e32 v18, v18, v9
	v_fma_f16 v25, v23, s5, v0
	v_sub_f16_e32 v26, v8, v30
	v_sub_f16_e32 v27, v9, v10
	v_fma_f16 v0, v23, s2, v0
	v_add_f16_e32 v23, v4, v6
	v_add_f16_e32 v18, v18, v10
	v_fma_f16 v25, v21, s3, v25
	v_add_f16_e32 v26, v26, v27
	v_fma_f16 v0, v21, s14, v0
	v_fma_f16 v23, v23, -0.5, v19
	v_sub_f16_e32 v10, v30, v10
	v_fma_f16 v25, v26, s4, v25
	v_fma_f16 v0, v26, s4, v0
	;; [unrolled: 1-line block ×3, first 2 shown]
	v_sub_f16_e32 v8, v8, v9
	v_fma_f16 v9, v8, s14, v26
	v_sub_f16_e32 v26, v2, v4
	v_sub_f16_e32 v27, v11, v6
	v_fma_f16 v23, v10, s2, v23
	v_add_f16_e32 v26, v26, v27
	v_fma_f16 v23, v8, s3, v23
	v_add_f16_e32 v21, v19, v2
	v_fma_f16 v9, v26, s4, v9
	v_fma_f16 v23, v26, s4, v23
	v_add_f16_e32 v26, v2, v11
	v_add_f16_e32 v21, v21, v4
	v_fma_f16 v19, v26, -0.5, v19
	v_add_f16_e32 v21, v21, v6
	v_fma_f16 v26, v8, s2, v19
	v_sub_f16_e32 v2, v4, v2
	v_sub_f16_e32 v4, v6, v11
	v_fma_f16 v6, v8, s5, v19
	v_add_f16_e32 v8, v12, v13
	v_fma_f16 v26, v10, s14, v26
	v_add_f16_e32 v2, v2, v4
	v_fma_f16 v6, v10, s3, v6
	v_fma_f16 v8, v8, -0.5, v1
	v_sub_f16_e32 v10, v3, v15
	v_add_f16_e32 v21, v21, v11
	v_fma_f16 v4, v2, s4, v26
	v_fma_f16 v11, v10, s2, v8
	v_sub_f16_e32 v19, v5, v7
	v_sub_f16_e32 v26, v17, v12
	v_sub_f16_e32 v27, v14, v13
	v_fma_f16 v8, v10, s5, v8
	v_fma_f16 v11, v19, s3, v11
	v_add_f16_e32 v26, v26, v27
	v_fma_f16 v8, v19, s14, v8
	v_fma_f16 v2, v2, s4, v6
	v_add_f16_e32 v6, v1, v17
	;; [unrolled: 3-line block ×3, first 2 shown]
	v_lshrrev_b32_e32 v24, 16, v1
	v_add_f16_e32 v6, v6, v12
	v_fma_f16 v1, v26, -0.5, v1
	v_add_f16_e32 v6, v6, v13
	v_fma_f16 v26, v19, s5, v1
	v_fma_f16 v1, v19, s2, v1
	v_add_f16_e32 v19, v5, v7
	v_add_f16_e32 v6, v6, v14
	v_sub_f16_e32 v27, v12, v17
	v_sub_f16_e32 v28, v13, v14
	v_fma_f16 v19, v19, -0.5, v24
	v_sub_f16_e32 v14, v17, v14
	v_fma_f16 v26, v10, s3, v26
	v_add_f16_e32 v27, v27, v28
	v_fma_f16 v1, v10, s14, v1
	v_fma_f16 v17, v14, s5, v19
	v_sub_f16_e32 v12, v12, v13
	v_fma_f16 v26, v27, s4, v26
	v_fma_f16 v1, v27, s4, v1
	;; [unrolled: 1-line block ×3, first 2 shown]
	v_sub_f16_e32 v17, v3, v5
	v_sub_f16_e32 v27, v15, v7
	v_fma_f16 v19, v14, s2, v19
	v_add_f16_e32 v17, v17, v27
	v_fma_f16 v19, v12, s3, v19
	v_add_f16_e32 v10, v24, v3
	v_fma_f16 v13, v17, s4, v13
	v_fma_f16 v17, v17, s4, v19
	v_add_f16_e32 v19, v3, v15
	v_add_f16_e32 v10, v10, v5
	v_fma_f16 v19, v19, -0.5, v24
	v_add_f16_e32 v10, v10, v7
	v_fma_f16 v24, v12, s2, v19
	v_sub_f16_e32 v3, v5, v3
	v_sub_f16_e32 v5, v7, v15
	v_fma_f16 v7, v12, s5, v19
	v_fma_f16 v24, v14, s14, v24
	v_add_f16_e32 v3, v3, v5
	v_fma_f16 v7, v14, s3, v7
	v_fma_f16 v5, v3, s4, v24
	;; [unrolled: 1-line block ×3, first 2 shown]
	v_pack_b32_f16 v7, v18, v21
	v_pack_b32_f16 v4, v25, v4
	;; [unrolled: 1-line block ×3, first 2 shown]
	v_add_u32_e32 v2, 0x500, v39
	v_add_f16_e32 v10, v10, v15
	ds_write_b32 v39, v7
	ds_write2_b32 v2, v4, v0 offset0:44 offset1:226
	v_pack_b32_f16 v0, v20, v23
	v_pack_b32_f16 v7, v22, v9
	ds_write_b32 v39, v0 offset:2912
	v_pack_b32_f16 v0, v6, v10
	ds_write2_b32 v39, v0, v7 offset0:91 offset1:182
	v_pack_b32_f16 v0, v11, v13
	v_pack_b32_f16 v2, v26, v5
	v_add_u32_e32 v4, 0x200, v29
	ds_write2_b32 v4, v0, v2 offset0:54 offset1:236
	v_pack_b32_f16 v0, v1, v3
	v_pack_b32_f16 v1, v8, v17
	v_add_u32_e32 v2, 0x800, v29
	ds_write2_b32 v2, v0, v1 offset0:34 offset1:216
	s_waitcnt lgkmcnt(0)
	s_barrier
	s_and_b64 exec, exec, s[0:1]
	s_cbranch_execz .LBB0_23
; %bb.22:
	global_load_dword v9, v37, s[6:7]
	global_load_dword v8, v37, s[6:7] offset:280
	ds_read_b32 v15, v39
	v_mad_u64_u32 v[2:3], s[0:1], s10, v16, 0
	v_mad_u64_u32 v[4:5], s[0:1], s8, v38, 0
	v_mov_b32_e32 v6, 0x7c00
	s_mov_b32 s14, 0x12012012
	v_mad_u64_u32 v[16:17], s[0:1], s11, v16, v[3:4]
	s_waitcnt lgkmcnt(0)
	v_lshrrev_b32_e32 v3, 16, v15
	v_mad_u64_u32 v[19:20], s[0:1], s9, v38, v[5:6]
	s_mov_b32 s15, 0x3f520120
	ds_read2_b32 v[0:1], v39 offset0:70 offset1:140
	global_load_dword v10, v37, s[6:7] offset:560
	global_load_dword v11, v37, s[6:7] offset:840
	;; [unrolled: 1-line block ×6, first 2 shown]
	s_movk_i32 s18, 0x1ff
	s_movk_i32 s17, 0xffe
	v_mov_b32_e32 v5, v19
	s_movk_i32 s16, 0x40f
	s_mov_b32 s10, 0x8000
	s_waitcnt vmcnt(7)
	v_mul_f16_sdwa v17, v3, v9 dst_sel:DWORD dst_unused:UNUSED_PAD src0_sel:DWORD src1_sel:WORD_1
	v_fma_f16 v17, v15, v9, v17
	v_mul_f16_sdwa v15, v15, v9 dst_sel:DWORD dst_unused:UNUSED_PAD src0_sel:DWORD src1_sel:WORD_1
	v_cvt_f32_f16_e32 v17, v17
	v_fma_f16 v3, v9, v3, -v15
	v_cvt_f32_f16_e32 v3, v3
	s_waitcnt lgkmcnt(0)
	v_lshrrev_b32_e32 v9, 16, v0
	v_cvt_f64_f32_e32 v[17:18], v17
	v_cvt_f64_f32_e32 v[20:21], v3
	s_waitcnt vmcnt(6)
	v_mul_f16_sdwa v3, v9, v8 dst_sel:DWORD dst_unused:UNUSED_PAD src0_sel:DWORD src1_sel:WORD_1
	v_mul_f64 v[17:18], v[17:18], s[14:15]
	v_fma_f16 v3, v0, v8, v3
	v_mul_f64 v[20:21], v[20:21], s[14:15]
	v_cvt_f32_f16_e32 v15, v3
	v_mov_b32_e32 v3, v16
	v_lshlrev_b64 v[2:3], 2, v[2:3]
	v_mul_f16_sdwa v0, v0, v8 dst_sel:DWORD dst_unused:UNUSED_PAD src0_sel:DWORD src1_sel:WORD_1
	v_cvt_f64_f32_e32 v[15:16], v15
	v_and_or_b32 v17, v18, s18, v17
	v_cmp_ne_u32_e32 vcc, 0, v17
	v_and_or_b32 v20, v21, s18, v20
	v_lshrrev_b32_e32 v19, 8, v18
	v_bfe_u32 v22, v18, 20, 11
	v_cndmask_b32_e64 v17, 0, 1, vcc
	v_cmp_ne_u32_e32 vcc, 0, v20
	v_lshrrev_b32_e32 v23, 8, v21
	v_bfe_u32 v24, v21, 20, 11
	v_sub_u32_e32 v25, 0x3f1, v22
	v_cndmask_b32_e64 v20, 0, 1, vcc
	v_and_or_b32 v17, v19, s17, v17
	v_sub_u32_e32 v26, 0x3f1, v24
	v_med3_i32 v19, v25, 0, 13
	v_and_or_b32 v20, v23, s17, v20
	v_or_b32_e32 v25, 0x1000, v17
	v_add_u32_e32 v22, 0xfffffc10, v22
	v_med3_i32 v23, v26, 0, 13
	v_cmp_ne_u32_e32 vcc, 0, v17
	v_or_b32_e32 v27, 0x1000, v20
	v_lshrrev_b32_e32 v29, v19, v25
	v_add_u32_e32 v24, 0xfffffc10, v24
	v_lshl_or_b32 v26, v22, 12, v17
	v_cndmask_b32_e64 v17, 0, 1, vcc
	v_cmp_ne_u32_e32 vcc, 0, v20
	v_lshrrev_b32_e32 v30, v23, v27
	v_lshlrev_b32_e32 v19, v19, v29
	v_lshl_or_b32 v28, v24, 12, v20
	v_cndmask_b32_e64 v20, 0, 1, vcc
	v_lshlrev_b32_e32 v23, v23, v30
	v_cmp_ne_u32_e32 vcc, v19, v25
	v_cndmask_b32_e64 v19, 0, 1, vcc
	v_cmp_ne_u32_e32 vcc, v23, v27
	v_cndmask_b32_e64 v23, 0, 1, vcc
	v_or_b32_e32 v19, v29, v19
	v_cmp_gt_i32_e32 vcc, 1, v22
	v_cndmask_b32_e32 v19, v26, v19, vcc
	v_or_b32_e32 v23, v30, v23
	v_cmp_gt_i32_e32 vcc, 1, v24
	v_and_b32_e32 v25, 7, v19
	v_cndmask_b32_e32 v23, v28, v23, vcc
	v_cmp_lt_i32_e32 vcc, 5, v25
	v_cmp_eq_u32_e64 s[0:1], 3, v25
	v_lshrrev_b32_e32 v19, 2, v19
	v_and_b32_e32 v26, 7, v23
	s_or_b64 vcc, s[0:1], vcc
	v_cmp_lt_i32_e64 s[2:3], 5, v26
	v_cmp_eq_u32_e64 s[4:5], 3, v26
	v_addc_co_u32_e32 v19, vcc, 0, v19, vcc
	v_lshrrev_b32_e32 v23, 2, v23
	s_or_b64 vcc, s[4:5], s[2:3]
	v_addc_co_u32_e32 v23, vcc, 0, v23, vcc
	v_cmp_gt_i32_e32 vcc, 31, v22
	v_cndmask_b32_e32 v19, v6, v19, vcc
	v_cmp_gt_i32_e32 vcc, 31, v24
	v_lshl_or_b32 v17, v17, 9, v6
	v_cndmask_b32_e32 v23, v6, v23, vcc
	v_cmp_eq_u32_e32 vcc, s16, v22
	v_mul_f64 v[15:16], v[15:16], s[14:15]
	v_lshrrev_b32_e32 v18, 16, v18
	v_lshl_or_b32 v20, v20, 9, v6
	v_cndmask_b32_e32 v17, v19, v17, vcc
	v_cmp_eq_u32_e32 vcc, s16, v24
	v_lshrrev_b32_e32 v21, 16, v21
	v_cndmask_b32_e32 v19, v23, v20, vcc
	v_and_or_b32 v17, v18, s10, v17
	v_and_or_b32 v18, v21, s10, v19
	v_and_b32_e32 v17, 0xffff, v17
	v_lshl_or_b32 v17, v18, 16, v17
	v_mov_b32_e32 v18, s13
	v_add_co_u32_e32 v19, vcc, s12, v2
	v_addc_co_u32_e32 v18, vcc, v18, v3, vcc
	v_lshlrev_b64 v[2:3], 2, v[4:5]
	v_and_or_b32 v4, v16, s18, v15
	v_add_co_u32_e32 v2, vcc, v19, v2
	v_addc_co_u32_e32 v3, vcc, v18, v3, vcc
	v_cmp_ne_u32_e32 vcc, 0, v4
	v_cndmask_b32_e64 v4, 0, 1, vcc
	v_lshrrev_b32_e32 v5, 8, v16
	v_and_or_b32 v15, v5, s17, v4
	v_bfe_u32 v5, v16, 20, 11
	global_store_dword v[2:3], v17, off
	v_sub_u32_e32 v17, 0x3f1, v5
	v_or_b32_e32 v4, 0x1000, v15
	v_med3_i32 v17, v17, 0, 13
	v_lshrrev_b32_e32 v18, v17, v4
	v_lshlrev_b32_e32 v17, v17, v18
	v_cmp_ne_u32_e32 vcc, v17, v4
	v_fma_f16 v0, v8, v9, -v0
	v_cndmask_b32_e64 v4, 0, 1, vcc
	v_add_u32_e32 v17, 0xfffffc10, v5
	v_cvt_f32_f16_e32 v0, v0
	v_or_b32_e32 v4, v18, v4
	v_lshl_or_b32 v5, v17, 12, v15
	v_cmp_gt_i32_e32 vcc, 1, v17
	v_cndmask_b32_e32 v4, v5, v4, vcc
	v_and_b32_e32 v5, 7, v4
	v_cmp_lt_i32_e32 vcc, 5, v5
	v_cmp_eq_u32_e64 s[0:1], 3, v5
	v_lshrrev_b32_e32 v8, 2, v4
	v_cvt_f64_f32_e32 v[4:5], v0
	s_or_b64 vcc, s[0:1], vcc
	v_addc_co_u32_e32 v0, vcc, 0, v8, vcc
	v_mul_f64 v[4:5], v[4:5], s[14:15]
	v_cmp_gt_i32_e32 vcc, 31, v17
	v_cndmask_b32_e32 v0, v6, v0, vcc
	v_cmp_ne_u32_e32 vcc, 0, v15
	v_cndmask_b32_e64 v8, 0, 1, vcc
	v_lshl_or_b32 v8, v8, 9, v6
	v_cmp_eq_u32_e32 vcc, s16, v17
	v_cndmask_b32_e32 v0, v0, v8, vcc
	v_and_or_b32 v4, v5, s18, v4
	v_lshrrev_b32_e32 v8, 16, v16
	v_cmp_ne_u32_e32 vcc, 0, v4
	v_and_or_b32 v0, v8, s10, v0
	v_cndmask_b32_e64 v4, 0, 1, vcc
	v_lshrrev_b32_e32 v8, 8, v5
	v_bfe_u32 v9, v5, 20, 11
	v_and_or_b32 v4, v8, s17, v4
	v_sub_u32_e32 v15, 0x3f1, v9
	v_or_b32_e32 v8, 0x1000, v4
	v_med3_i32 v15, v15, 0, 13
	v_lshrrev_b32_e32 v16, v15, v8
	v_lshlrev_b32_e32 v15, v15, v16
	v_cmp_ne_u32_e32 vcc, v15, v8
	v_cndmask_b32_e64 v8, 0, 1, vcc
	v_add_u32_e32 v9, 0xfffffc10, v9
	v_or_b32_e32 v8, v16, v8
	v_lshl_or_b32 v15, v9, 12, v4
	v_cmp_gt_i32_e32 vcc, 1, v9
	v_cndmask_b32_e32 v8, v15, v8, vcc
	v_and_b32_e32 v15, 7, v8
	v_cmp_lt_i32_e32 vcc, 5, v15
	v_cmp_eq_u32_e64 s[0:1], 3, v15
	v_lshrrev_b32_e32 v8, 2, v8
	s_or_b64 vcc, s[0:1], vcc
	v_addc_co_u32_e32 v8, vcc, 0, v8, vcc
	v_cmp_gt_i32_e32 vcc, 31, v9
	v_cndmask_b32_e32 v8, v6, v8, vcc
	v_cmp_ne_u32_e32 vcc, 0, v4
	v_cndmask_b32_e64 v4, 0, 1, vcc
	v_lshl_or_b32 v4, v4, 9, v6
	v_cmp_eq_u32_e32 vcc, s16, v9
	v_cndmask_b32_e32 v4, v8, v4, vcc
	v_lshrrev_b32_e32 v8, 16, v1
	s_waitcnt vmcnt(6)
	v_mul_f16_sdwa v9, v8, v10 dst_sel:DWORD dst_unused:UNUSED_PAD src0_sel:DWORD src1_sel:WORD_1
	v_fma_f16 v9, v1, v10, v9
	v_cvt_f32_f16_e32 v9, v9
	v_lshrrev_b32_e32 v5, 16, v5
	v_and_or_b32 v4, v5, s10, v4
	v_and_b32_e32 v0, 0xffff, v0
	v_lshl_or_b32 v0, v4, 16, v0
	v_cvt_f64_f32_e32 v[4:5], v9
	s_mul_i32 s0, s9, 0x118
	s_mul_hi_u32 s2, s8, 0x118
	s_add_i32 s2, s2, s0
	v_mul_f64 v[4:5], v[4:5], s[14:15]
	s_mul_i32 s3, s8, 0x118
	v_mov_b32_e32 v9, s2
	v_add_co_u32_e32 v2, vcc, s3, v2
	v_addc_co_u32_e32 v3, vcc, v3, v9, vcc
	global_store_dword v[2:3], v0, off
	v_and_or_b32 v0, v5, s18, v4
	v_cmp_ne_u32_e32 vcc, 0, v0
	v_cndmask_b32_e64 v0, 0, 1, vcc
	v_lshrrev_b32_e32 v4, 8, v5
	v_bfe_u32 v9, v5, 20, 11
	v_and_or_b32 v4, v4, s17, v0
	v_sub_u32_e32 v15, 0x3f1, v9
	v_or_b32_e32 v0, 0x1000, v4
	v_med3_i32 v15, v15, 0, 13
	v_lshrrev_b32_e32 v16, v15, v0
	v_mul_f16_sdwa v1, v1, v10 dst_sel:DWORD dst_unused:UNUSED_PAD src0_sel:DWORD src1_sel:WORD_1
	v_lshlrev_b32_e32 v15, v15, v16
	v_fma_f16 v1, v10, v8, -v1
	v_cmp_ne_u32_e32 vcc, v15, v0
	v_cvt_f32_f16_e32 v1, v1
	v_cndmask_b32_e64 v0, 0, 1, vcc
	v_add_u32_e32 v9, 0xfffffc10, v9
	v_or_b32_e32 v0, v16, v0
	v_lshl_or_b32 v15, v9, 12, v4
	v_cmp_gt_i32_e32 vcc, 1, v9
	v_cndmask_b32_e32 v0, v15, v0, vcc
	v_and_b32_e32 v15, 7, v0
	v_lshrrev_b32_e32 v8, 2, v0
	v_cvt_f64_f32_e32 v[0:1], v1
	v_cmp_lt_i32_e32 vcc, 5, v15
	v_cmp_eq_u32_e64 s[0:1], 3, v15
	s_or_b64 vcc, s[0:1], vcc
	v_mul_f64 v[0:1], v[0:1], s[14:15]
	v_addc_co_u32_e32 v8, vcc, 0, v8, vcc
	v_cmp_gt_i32_e32 vcc, 31, v9
	v_cndmask_b32_e32 v8, v6, v8, vcc
	v_cmp_ne_u32_e32 vcc, 0, v4
	v_cndmask_b32_e64 v4, 0, 1, vcc
	v_lshl_or_b32 v4, v4, 9, v6
	v_cmp_eq_u32_e32 vcc, s16, v9
	v_and_or_b32 v0, v1, s18, v0
	v_cndmask_b32_e32 v4, v8, v4, vcc
	v_lshrrev_b32_e32 v5, 16, v5
	v_cmp_ne_u32_e32 vcc, 0, v0
	v_and_or_b32 v10, v5, s10, v4
	v_cndmask_b32_e64 v0, 0, 1, vcc
	v_lshrrev_b32_e32 v4, 8, v1
	v_bfe_u32 v5, v1, 20, 11
	v_and_or_b32 v0, v4, s17, v0
	v_sub_u32_e32 v8, 0x3f1, v5
	v_or_b32_e32 v4, 0x1000, v0
	v_med3_i32 v8, v8, 0, 13
	v_lshrrev_b32_e32 v9, v8, v4
	v_lshlrev_b32_e32 v8, v8, v9
	v_cmp_ne_u32_e32 vcc, v8, v4
	v_cndmask_b32_e64 v4, 0, 1, vcc
	v_add_u32_e32 v8, 0xfffffc10, v5
	v_or_b32_e32 v4, v9, v4
	v_lshl_or_b32 v5, v8, 12, v0
	v_cmp_gt_i32_e32 vcc, 1, v8
	v_cndmask_b32_e32 v4, v5, v4, vcc
	v_and_b32_e32 v5, 7, v4
	v_cmp_lt_i32_e32 vcc, 5, v5
	v_cmp_eq_u32_e64 s[0:1], 3, v5
	v_lshrrev_b32_e32 v4, 2, v4
	s_or_b64 vcc, s[0:1], vcc
	v_addc_co_u32_e32 v9, vcc, 0, v4, vcc
	v_add_u32_e32 v4, 0x200, v39
	ds_read2_b32 v[4:5], v4 offset0:82 offset1:152
	v_cmp_gt_i32_e32 vcc, 31, v8
	v_cndmask_b32_e32 v9, v6, v9, vcc
	v_cmp_ne_u32_e32 vcc, 0, v0
	v_cndmask_b32_e64 v0, 0, 1, vcc
	s_waitcnt lgkmcnt(0)
	v_lshrrev_b32_e32 v15, 16, v4
	s_waitcnt vmcnt(6)
	v_mul_f16_sdwa v16, v15, v11 dst_sel:DWORD dst_unused:UNUSED_PAD src0_sel:DWORD src1_sel:WORD_1
	v_fma_f16 v16, v4, v11, v16
	v_cvt_f32_f16_e32 v16, v16
	v_lshl_or_b32 v0, v0, 9, v6
	v_cmp_eq_u32_e32 vcc, s16, v8
	v_cndmask_b32_e32 v0, v9, v0, vcc
	v_cvt_f64_f32_e32 v[8:9], v16
	v_lshrrev_b32_e32 v1, 16, v1
	v_and_or_b32 v16, v1, s10, v0
	v_add_co_u32_e32 v2, vcc, s3, v2
	v_mul_f64 v[0:1], v[8:9], s[14:15]
	v_mov_b32_e32 v9, s2
	v_and_b32_e32 v10, 0xffff, v10
	v_addc_co_u32_e32 v3, vcc, v3, v9, vcc
	v_lshl_or_b32 v8, v16, 16, v10
	global_store_dword v[2:3], v8, off
	v_mul_f16_sdwa v4, v4, v11 dst_sel:DWORD dst_unused:UNUSED_PAD src0_sel:DWORD src1_sel:WORD_1
	v_and_or_b32 v0, v1, s18, v0
	v_cmp_ne_u32_e32 vcc, 0, v0
	v_cndmask_b32_e64 v0, 0, 1, vcc
	v_lshrrev_b32_e32 v8, 8, v1
	v_bfe_u32 v9, v1, 20, 11
	v_and_or_b32 v0, v8, s17, v0
	v_sub_u32_e32 v10, 0x3f1, v9
	v_or_b32_e32 v8, 0x1000, v0
	v_med3_i32 v10, v10, 0, 13
	v_lshrrev_b32_e32 v16, v10, v8
	v_lshlrev_b32_e32 v10, v10, v16
	v_cmp_ne_u32_e32 vcc, v10, v8
	v_fma_f16 v4, v11, v15, -v4
	v_cndmask_b32_e64 v8, 0, 1, vcc
	v_add_u32_e32 v10, 0xfffffc10, v9
	v_cvt_f32_f16_e32 v4, v4
	v_or_b32_e32 v8, v16, v8
	v_lshl_or_b32 v9, v10, 12, v0
	v_cmp_gt_i32_e32 vcc, 1, v10
	v_cndmask_b32_e32 v8, v9, v8, vcc
	v_and_b32_e32 v9, 7, v8
	v_cmp_lt_i32_e32 vcc, 5, v9
	v_cmp_eq_u32_e64 s[0:1], 3, v9
	v_lshrrev_b32_e32 v11, 2, v8
	v_cvt_f64_f32_e32 v[8:9], v4
	s_or_b64 vcc, s[0:1], vcc
	v_addc_co_u32_e32 v4, vcc, 0, v11, vcc
	v_mul_f64 v[8:9], v[8:9], s[14:15]
	v_cmp_gt_i32_e32 vcc, 31, v10
	v_cndmask_b32_e32 v4, v6, v4, vcc
	v_cmp_ne_u32_e32 vcc, 0, v0
	v_cndmask_b32_e64 v0, 0, 1, vcc
	v_lshl_or_b32 v0, v0, 9, v6
	v_cmp_eq_u32_e32 vcc, s16, v10
	v_cndmask_b32_e32 v0, v4, v0, vcc
	v_lshrrev_b32_e32 v1, 16, v1
	v_and_or_b32 v4, v1, s10, v0
	v_and_or_b32 v0, v9, s18, v8
	v_cmp_ne_u32_e32 vcc, 0, v0
	v_cndmask_b32_e64 v0, 0, 1, vcc
	v_lshrrev_b32_e32 v1, 8, v9
	v_bfe_u32 v8, v9, 20, 11
	v_and_or_b32 v0, v1, s17, v0
	v_sub_u32_e32 v10, 0x3f1, v8
	v_or_b32_e32 v1, 0x1000, v0
	v_med3_i32 v10, v10, 0, 13
	v_lshrrev_b32_e32 v11, v10, v1
	v_lshlrev_b32_e32 v10, v10, v11
	v_cmp_ne_u32_e32 vcc, v10, v1
	v_cndmask_b32_e64 v1, 0, 1, vcc
	v_add_u32_e32 v8, 0xfffffc10, v8
	v_or_b32_e32 v1, v11, v1
	v_lshl_or_b32 v10, v8, 12, v0
	v_cmp_gt_i32_e32 vcc, 1, v8
	v_cndmask_b32_e32 v1, v10, v1, vcc
	v_and_b32_e32 v10, 7, v1
	v_cmp_lt_i32_e32 vcc, 5, v10
	v_cmp_eq_u32_e64 s[0:1], 3, v10
	v_lshrrev_b32_e32 v10, 16, v5
	v_lshrrev_b32_e32 v1, 2, v1
	s_or_b64 vcc, s[0:1], vcc
	s_waitcnt vmcnt(6)
	v_mul_f16_sdwa v11, v10, v12 dst_sel:DWORD dst_unused:UNUSED_PAD src0_sel:DWORD src1_sel:WORD_1
	v_addc_co_u32_e32 v1, vcc, 0, v1, vcc
	v_fma_f16 v11, v5, v12, v11
	v_cmp_gt_i32_e32 vcc, 31, v8
	v_cvt_f32_f16_e32 v11, v11
	v_cndmask_b32_e32 v1, v6, v1, vcc
	v_cmp_ne_u32_e32 vcc, 0, v0
	v_cndmask_b32_e64 v0, 0, 1, vcc
	v_lshl_or_b32 v0, v0, 9, v6
	v_cmp_eq_u32_e32 vcc, s16, v8
	v_cndmask_b32_e32 v8, v1, v0, vcc
	v_cvt_f64_f32_e32 v[0:1], v11
	v_lshrrev_b32_e32 v9, 16, v9
	v_and_or_b32 v8, v9, s10, v8
	v_and_b32_e32 v4, 0xffff, v4
	v_mul_f64 v[0:1], v[0:1], s[14:15]
	v_lshl_or_b32 v4, v8, 16, v4
	v_mov_b32_e32 v8, s2
	v_add_co_u32_e32 v2, vcc, s3, v2
	v_addc_co_u32_e32 v3, vcc, v3, v8, vcc
	global_store_dword v[2:3], v4, off
	v_and_or_b32 v0, v1, s18, v0
	v_cmp_ne_u32_e32 vcc, 0, v0
	v_cndmask_b32_e64 v0, 0, 1, vcc
	v_lshrrev_b32_e32 v4, 8, v1
	v_bfe_u32 v8, v1, 20, 11
	v_and_or_b32 v0, v4, s17, v0
	v_sub_u32_e32 v9, 0x3f1, v8
	v_or_b32_e32 v4, 0x1000, v0
	v_med3_i32 v9, v9, 0, 13
	v_lshrrev_b32_e32 v11, v9, v4
	v_lshlrev_b32_e32 v9, v9, v11
	v_mul_f16_sdwa v5, v5, v12 dst_sel:DWORD dst_unused:UNUSED_PAD src0_sel:DWORD src1_sel:WORD_1
	v_cmp_ne_u32_e32 vcc, v9, v4
	v_fma_f16 v5, v12, v10, -v5
	v_cndmask_b32_e64 v4, 0, 1, vcc
	v_add_u32_e32 v8, 0xfffffc10, v8
	v_cvt_f32_f16_e32 v5, v5
	v_or_b32_e32 v4, v11, v4
	v_lshl_or_b32 v9, v8, 12, v0
	v_cmp_gt_i32_e32 vcc, 1, v8
	v_cndmask_b32_e32 v4, v9, v4, vcc
	v_and_b32_e32 v9, 7, v4
	v_cmp_lt_i32_e32 vcc, 5, v9
	v_cmp_eq_u32_e64 s[0:1], 3, v9
	v_lshrrev_b32_e32 v9, 2, v4
	v_cvt_f64_f32_e32 v[4:5], v5
	s_or_b64 vcc, s[0:1], vcc
	v_addc_co_u32_e32 v9, vcc, 0, v9, vcc
	v_mul_f64 v[4:5], v[4:5], s[14:15]
	v_cmp_gt_i32_e32 vcc, 31, v8
	v_cndmask_b32_e32 v9, v6, v9, vcc
	v_cmp_ne_u32_e32 vcc, 0, v0
	v_cndmask_b32_e64 v0, 0, 1, vcc
	v_lshl_or_b32 v0, v0, 9, v6
	v_cmp_eq_u32_e32 vcc, s16, v8
	v_cndmask_b32_e32 v0, v9, v0, vcc
	v_lshrrev_b32_e32 v1, 16, v1
	v_and_or_b32 v10, v1, s10, v0
	v_and_or_b32 v0, v5, s18, v4
	v_cmp_ne_u32_e32 vcc, 0, v0
	v_cndmask_b32_e64 v0, 0, 1, vcc
	v_lshrrev_b32_e32 v1, 8, v5
	v_and_or_b32 v4, v1, s17, v0
	v_bfe_u32 v1, v5, 20, 11
	v_sub_u32_e32 v8, 0x3f1, v1
	v_or_b32_e32 v0, 0x1000, v4
	v_med3_i32 v8, v8, 0, 13
	v_lshrrev_b32_e32 v9, v8, v0
	v_lshlrev_b32_e32 v8, v8, v9
	v_cmp_ne_u32_e32 vcc, v8, v0
	v_cndmask_b32_e64 v0, 0, 1, vcc
	v_add_u32_e32 v8, 0xfffffc10, v1
	v_or_b32_e32 v0, v9, v0
	v_lshl_or_b32 v1, v8, 12, v4
	v_cmp_gt_i32_e32 vcc, 1, v8
	v_cndmask_b32_e32 v0, v1, v0, vcc
	v_and_b32_e32 v1, 7, v0
	v_cmp_lt_i32_e32 vcc, 5, v1
	v_cmp_eq_u32_e64 s[0:1], 3, v1
	v_lshrrev_b32_e32 v0, 2, v0
	s_or_b64 vcc, s[0:1], vcc
	v_addc_co_u32_e32 v9, vcc, 0, v0, vcc
	v_add_u32_e32 v0, 0x400, v39
	ds_read2_b32 v[0:1], v0 offset0:94 offset1:164
	v_cmp_gt_i32_e32 vcc, 31, v8
	v_cndmask_b32_e32 v9, v6, v9, vcc
	v_cmp_ne_u32_e32 vcc, 0, v4
	v_cndmask_b32_e64 v4, 0, 1, vcc
	s_waitcnt lgkmcnt(0)
	v_lshrrev_b32_e32 v11, 16, v0
	s_waitcnt vmcnt(6)
	v_mul_f16_sdwa v12, v11, v13 dst_sel:DWORD dst_unused:UNUSED_PAD src0_sel:DWORD src1_sel:WORD_1
	v_fma_f16 v12, v0, v13, v12
	v_cvt_f32_f16_e32 v12, v12
	v_lshl_or_b32 v4, v4, 9, v6
	v_cmp_eq_u32_e32 vcc, s16, v8
	v_cndmask_b32_e32 v4, v9, v4, vcc
	v_cvt_f64_f32_e32 v[8:9], v12
	v_lshrrev_b32_e32 v5, 16, v5
	v_and_or_b32 v12, v5, s10, v4
	v_add_co_u32_e32 v2, vcc, s3, v2
	v_mul_f64 v[4:5], v[8:9], s[14:15]
	v_mov_b32_e32 v9, s2
	v_and_b32_e32 v10, 0xffff, v10
	v_addc_co_u32_e32 v3, vcc, v3, v9, vcc
	v_lshl_or_b32 v8, v12, 16, v10
	global_store_dword v[2:3], v8, off
	v_mul_f16_sdwa v0, v0, v13 dst_sel:DWORD dst_unused:UNUSED_PAD src0_sel:DWORD src1_sel:WORD_1
	v_and_or_b32 v4, v5, s18, v4
	v_cmp_ne_u32_e32 vcc, 0, v4
	v_cndmask_b32_e64 v4, 0, 1, vcc
	v_lshrrev_b32_e32 v8, 8, v5
	v_bfe_u32 v9, v5, 20, 11
	v_and_or_b32 v4, v8, s17, v4
	v_sub_u32_e32 v10, 0x3f1, v9
	v_or_b32_e32 v8, 0x1000, v4
	v_med3_i32 v10, v10, 0, 13
	v_lshrrev_b32_e32 v12, v10, v8
	v_lshlrev_b32_e32 v10, v10, v12
	v_cmp_ne_u32_e32 vcc, v10, v8
	v_fma_f16 v0, v13, v11, -v0
	v_cndmask_b32_e64 v8, 0, 1, vcc
	v_add_u32_e32 v10, 0xfffffc10, v9
	v_cvt_f32_f16_e32 v0, v0
	v_or_b32_e32 v8, v12, v8
	v_lshl_or_b32 v9, v10, 12, v4
	v_cmp_gt_i32_e32 vcc, 1, v10
	v_cndmask_b32_e32 v8, v9, v8, vcc
	v_and_b32_e32 v9, 7, v8
	v_cmp_lt_i32_e32 vcc, 5, v9
	v_cmp_eq_u32_e64 s[0:1], 3, v9
	v_lshrrev_b32_e32 v11, 2, v8
	v_cvt_f64_f32_e32 v[8:9], v0
	s_or_b64 vcc, s[0:1], vcc
	v_addc_co_u32_e32 v0, vcc, 0, v11, vcc
	v_mul_f64 v[8:9], v[8:9], s[14:15]
	v_cmp_gt_i32_e32 vcc, 31, v10
	v_cndmask_b32_e32 v0, v6, v0, vcc
	v_cmp_ne_u32_e32 vcc, 0, v4
	v_cndmask_b32_e64 v4, 0, 1, vcc
	v_lshl_or_b32 v4, v4, 9, v6
	v_cmp_eq_u32_e32 vcc, s16, v10
	v_cndmask_b32_e32 v0, v0, v4, vcc
	v_lshrrev_b32_e32 v4, 16, v5
	v_and_or_b32 v0, v4, s10, v0
	v_and_or_b32 v4, v9, s18, v8
	v_cmp_ne_u32_e32 vcc, 0, v4
	v_cndmask_b32_e64 v4, 0, 1, vcc
	v_lshrrev_b32_e32 v5, 8, v9
	v_bfe_u32 v8, v9, 20, 11
	v_and_or_b32 v4, v5, s17, v4
	v_sub_u32_e32 v10, 0x3f1, v8
	v_or_b32_e32 v5, 0x1000, v4
	v_med3_i32 v10, v10, 0, 13
	v_lshrrev_b32_e32 v11, v10, v5
	v_lshlrev_b32_e32 v10, v10, v11
	v_cmp_ne_u32_e32 vcc, v10, v5
	v_cndmask_b32_e64 v5, 0, 1, vcc
	v_add_u32_e32 v8, 0xfffffc10, v8
	v_or_b32_e32 v5, v11, v5
	v_lshl_or_b32 v10, v8, 12, v4
	v_cmp_gt_i32_e32 vcc, 1, v8
	v_cndmask_b32_e32 v5, v10, v5, vcc
	v_and_b32_e32 v10, 7, v5
	v_cmp_lt_i32_e32 vcc, 5, v10
	v_cmp_eq_u32_e64 s[0:1], 3, v10
	v_lshrrev_b32_e32 v10, 16, v1
	v_lshrrev_b32_e32 v5, 2, v5
	s_or_b64 vcc, s[0:1], vcc
	s_waitcnt vmcnt(6)
	v_mul_f16_sdwa v11, v10, v14 dst_sel:DWORD dst_unused:UNUSED_PAD src0_sel:DWORD src1_sel:WORD_1
	v_addc_co_u32_e32 v5, vcc, 0, v5, vcc
	v_fma_f16 v11, v1, v14, v11
	v_cmp_gt_i32_e32 vcc, 31, v8
	v_cvt_f32_f16_e32 v11, v11
	v_cndmask_b32_e32 v5, v6, v5, vcc
	v_cmp_ne_u32_e32 vcc, 0, v4
	v_cndmask_b32_e64 v4, 0, 1, vcc
	v_lshl_or_b32 v4, v4, 9, v6
	v_cmp_eq_u32_e32 vcc, s16, v8
	v_cndmask_b32_e32 v8, v5, v4, vcc
	v_cvt_f64_f32_e32 v[4:5], v11
	v_lshrrev_b32_e32 v9, 16, v9
	v_and_or_b32 v8, v9, s10, v8
	v_and_b32_e32 v0, 0xffff, v0
	v_mul_f64 v[4:5], v[4:5], s[14:15]
	v_lshl_or_b32 v0, v8, 16, v0
	v_mov_b32_e32 v8, s2
	v_add_co_u32_e32 v2, vcc, s3, v2
	v_addc_co_u32_e32 v3, vcc, v3, v8, vcc
	global_store_dword v[2:3], v0, off
	v_and_or_b32 v0, v5, s18, v4
	v_cmp_ne_u32_e32 vcc, 0, v0
	v_cndmask_b32_e64 v0, 0, 1, vcc
	v_lshrrev_b32_e32 v4, 8, v5
	v_bfe_u32 v8, v5, 20, 11
	v_and_or_b32 v4, v4, s17, v0
	v_sub_u32_e32 v9, 0x3f1, v8
	v_or_b32_e32 v0, 0x1000, v4
	v_med3_i32 v9, v9, 0, 13
	v_lshrrev_b32_e32 v11, v9, v0
	v_lshlrev_b32_e32 v9, v9, v11
	v_mul_f16_sdwa v1, v1, v14 dst_sel:DWORD dst_unused:UNUSED_PAD src0_sel:DWORD src1_sel:WORD_1
	v_cmp_ne_u32_e32 vcc, v9, v0
	v_fma_f16 v1, v14, v10, -v1
	v_cndmask_b32_e64 v0, 0, 1, vcc
	v_add_u32_e32 v8, 0xfffffc10, v8
	v_cvt_f32_f16_e32 v1, v1
	v_or_b32_e32 v0, v11, v0
	v_lshl_or_b32 v9, v8, 12, v4
	v_cmp_gt_i32_e32 vcc, 1, v8
	v_cndmask_b32_e32 v0, v9, v0, vcc
	v_and_b32_e32 v9, 7, v0
	v_cmp_lt_i32_e32 vcc, 5, v9
	v_cmp_eq_u32_e64 s[0:1], 3, v9
	v_lshrrev_b32_e32 v9, 2, v0
	v_cvt_f64_f32_e32 v[0:1], v1
	s_or_b64 vcc, s[0:1], vcc
	v_addc_co_u32_e32 v9, vcc, 0, v9, vcc
	v_mul_f64 v[0:1], v[0:1], s[14:15]
	v_cmp_gt_i32_e32 vcc, 31, v8
	v_cndmask_b32_e32 v9, v6, v9, vcc
	v_cmp_ne_u32_e32 vcc, 0, v4
	v_cndmask_b32_e64 v4, 0, 1, vcc
	v_lshl_or_b32 v4, v4, 9, v6
	v_cmp_eq_u32_e32 vcc, s16, v8
	v_cndmask_b32_e32 v4, v9, v4, vcc
	v_and_or_b32 v0, v1, s18, v0
	v_lshrrev_b32_e32 v5, 16, v5
	v_cmp_ne_u32_e32 vcc, 0, v0
	v_and_or_b32 v10, v5, s10, v4
	v_cndmask_b32_e64 v0, 0, 1, vcc
	v_lshrrev_b32_e32 v4, 8, v1
	v_bfe_u32 v5, v1, 20, 11
	v_and_or_b32 v0, v4, s17, v0
	v_sub_u32_e32 v8, 0x3f1, v5
	v_or_b32_e32 v4, 0x1000, v0
	v_med3_i32 v8, v8, 0, 13
	v_lshrrev_b32_e32 v9, v8, v4
	v_lshlrev_b32_e32 v8, v8, v9
	v_cmp_ne_u32_e32 vcc, v8, v4
	v_cndmask_b32_e64 v4, 0, 1, vcc
	v_add_u32_e32 v8, 0xfffffc10, v5
	v_or_b32_e32 v4, v9, v4
	v_lshl_or_b32 v5, v8, 12, v0
	v_cmp_gt_i32_e32 vcc, 1, v8
	v_cndmask_b32_e32 v4, v5, v4, vcc
	v_and_b32_e32 v5, 7, v4
	v_cmp_lt_i32_e32 vcc, 5, v5
	v_cmp_eq_u32_e64 s[0:1], 3, v5
	v_lshrrev_b32_e32 v4, 2, v4
	s_or_b64 vcc, s[0:1], vcc
	v_addc_co_u32_e32 v9, vcc, 0, v4, vcc
	v_add_u32_e32 v4, 0x600, v39
	ds_read2_b32 v[4:5], v4 offset0:106 offset1:176
	v_cmp_gt_i32_e32 vcc, 31, v8
	v_cndmask_b32_e32 v9, v6, v9, vcc
	v_cmp_ne_u32_e32 vcc, 0, v0
	v_cndmask_b32_e64 v0, 0, 1, vcc
	s_waitcnt lgkmcnt(0)
	v_lshrrev_b32_e32 v11, 16, v4
	s_waitcnt vmcnt(6)
	v_mul_f16_sdwa v12, v11, v7 dst_sel:DWORD dst_unused:UNUSED_PAD src0_sel:DWORD src1_sel:WORD_1
	v_fma_f16 v12, v4, v7, v12
	v_cvt_f32_f16_e32 v12, v12
	v_lshl_or_b32 v0, v0, 9, v6
	v_cmp_eq_u32_e32 vcc, s16, v8
	v_cndmask_b32_e32 v0, v9, v0, vcc
	v_cvt_f64_f32_e32 v[8:9], v12
	v_lshrrev_b32_e32 v1, 16, v1
	v_and_or_b32 v12, v1, s10, v0
	v_and_b32_e32 v10, 0xffff, v10
	v_mul_f64 v[0:1], v[8:9], s[14:15]
	global_load_dword v9, v37, s[6:7] offset:2240
	v_lshl_or_b32 v8, v12, 16, v10
	v_mov_b32_e32 v10, s2
	v_add_co_u32_e32 v2, vcc, s3, v2
	v_addc_co_u32_e32 v3, vcc, v3, v10, vcc
	v_and_or_b32 v0, v1, s18, v0
	v_cmp_ne_u32_e32 vcc, 0, v0
	global_store_dword v[2:3], v8, off
	v_cndmask_b32_e64 v0, 0, 1, vcc
	v_lshrrev_b32_e32 v8, 8, v1
	v_bfe_u32 v10, v1, 20, 11
	v_and_or_b32 v0, v8, s17, v0
	v_sub_u32_e32 v12, 0x3f1, v10
	v_or_b32_e32 v8, 0x1000, v0
	v_med3_i32 v12, v12, 0, 13
	v_lshrrev_b32_e32 v13, v12, v8
	v_mul_f16_sdwa v4, v4, v7 dst_sel:DWORD dst_unused:UNUSED_PAD src0_sel:DWORD src1_sel:WORD_1
	v_lshlrev_b32_e32 v12, v12, v13
	v_fma_f16 v4, v7, v11, -v4
	v_cmp_ne_u32_e32 vcc, v12, v8
	v_cvt_f32_f16_e32 v4, v4
	v_cndmask_b32_e64 v8, 0, 1, vcc
	v_add_u32_e32 v10, 0xfffffc10, v10
	v_or_b32_e32 v8, v13, v8
	v_lshl_or_b32 v12, v10, 12, v0
	v_cmp_gt_i32_e32 vcc, 1, v10
	v_cndmask_b32_e32 v8, v12, v8, vcc
	v_and_b32_e32 v12, 7, v8
	v_lshrrev_b32_e32 v11, 2, v8
	v_cvt_f64_f32_e32 v[7:8], v4
	v_cmp_lt_i32_e32 vcc, 5, v12
	v_cmp_eq_u32_e64 s[0:1], 3, v12
	s_or_b64 vcc, s[0:1], vcc
	v_mul_f64 v[7:8], v[7:8], s[14:15]
	v_addc_co_u32_e32 v4, vcc, 0, v11, vcc
	v_cmp_gt_i32_e32 vcc, 31, v10
	v_cndmask_b32_e32 v4, v6, v4, vcc
	v_cmp_ne_u32_e32 vcc, 0, v0
	v_cndmask_b32_e64 v0, 0, 1, vcc
	v_lshl_or_b32 v0, v0, 9, v6
	v_cmp_eq_u32_e32 vcc, s16, v10
	v_cndmask_b32_e32 v0, v4, v0, vcc
	v_lshrrev_b32_e32 v1, 16, v1
	v_and_or_b32 v4, v1, s10, v0
	v_and_or_b32 v0, v8, s18, v7
	v_cmp_ne_u32_e32 vcc, 0, v0
	v_cndmask_b32_e64 v0, 0, 1, vcc
	v_lshrrev_b32_e32 v1, 8, v8
	v_bfe_u32 v7, v8, 20, 11
	v_and_or_b32 v0, v1, s17, v0
	v_sub_u32_e32 v10, 0x3f1, v7
	v_or_b32_e32 v1, 0x1000, v0
	v_med3_i32 v10, v10, 0, 13
	v_lshrrev_b32_e32 v11, v10, v1
	v_lshlrev_b32_e32 v10, v10, v11
	v_cmp_ne_u32_e32 vcc, v10, v1
	v_cndmask_b32_e64 v1, 0, 1, vcc
	v_or_b32_e32 v1, v11, v1
	global_load_dword v11, v37, s[6:7] offset:2520
	global_load_dword v12, v37, s[6:7] offset:2800
	;; [unrolled: 1-line block ×3, first 2 shown]
	v_add_u32_e32 v7, 0xfffffc10, v7
	v_lshl_or_b32 v10, v7, 12, v0
	v_cmp_gt_i32_e32 vcc, 1, v7
	v_cndmask_b32_e32 v1, v10, v1, vcc
	v_and_b32_e32 v10, 7, v1
	v_cmp_lt_i32_e32 vcc, 5, v10
	v_cmp_eq_u32_e64 s[0:1], 3, v10
	v_lshrrev_b32_e32 v10, 16, v5
	v_lshrrev_b32_e32 v1, 2, v1
	s_or_b64 vcc, s[0:1], vcc
	v_addc_co_u32_e32 v1, vcc, 0, v1, vcc
	v_cmp_gt_i32_e32 vcc, 31, v7
	v_cndmask_b32_e32 v1, v6, v1, vcc
	v_cmp_ne_u32_e32 vcc, 0, v0
	v_cndmask_b32_e64 v0, 0, 1, vcc
	v_lshl_or_b32 v0, v0, 9, v6
	v_cmp_eq_u32_e32 vcc, s16, v7
	s_waitcnt vmcnt(4)
	v_mul_f16_sdwa v14, v10, v9 dst_sel:DWORD dst_unused:UNUSED_PAD src0_sel:DWORD src1_sel:WORD_1
	v_fma_f16 v14, v5, v9, v14
	v_cvt_f32_f16_e32 v14, v14
	v_cndmask_b32_e32 v7, v1, v0, vcc
	v_lshrrev_b32_e32 v8, 16, v8
	v_and_or_b32 v7, v8, s10, v7
	v_cvt_f64_f32_e32 v[0:1], v14
	v_and_b32_e32 v4, 0xffff, v4
	v_lshl_or_b32 v4, v7, 16, v4
	v_mov_b32_e32 v7, s2
	v_mul_f64 v[0:1], v[0:1], s[14:15]
	v_add_co_u32_e32 v2, vcc, s3, v2
	v_addc_co_u32_e32 v3, vcc, v3, v7, vcc
	global_store_dword v[2:3], v4, off
	v_mul_f16_sdwa v5, v5, v9 dst_sel:DWORD dst_unused:UNUSED_PAD src0_sel:DWORD src1_sel:WORD_1
	v_fma_f16 v5, v9, v10, -v5
	v_and_or_b32 v0, v1, s18, v0
	v_cmp_ne_u32_e32 vcc, 0, v0
	v_cndmask_b32_e64 v0, 0, 1, vcc
	v_lshrrev_b32_e32 v4, 8, v1
	v_bfe_u32 v7, v1, 20, 11
	v_and_or_b32 v0, v4, s17, v0
	v_sub_u32_e32 v8, 0x3f1, v7
	v_or_b32_e32 v4, 0x1000, v0
	v_med3_i32 v8, v8, 0, 13
	v_lshrrev_b32_e32 v14, v8, v4
	v_lshlrev_b32_e32 v8, v8, v14
	v_cmp_ne_u32_e32 vcc, v8, v4
	v_cndmask_b32_e64 v4, 0, 1, vcc
	v_add_u32_e32 v7, 0xfffffc10, v7
	v_cvt_f32_f16_e32 v5, v5
	v_or_b32_e32 v4, v14, v4
	v_lshl_or_b32 v8, v7, 12, v0
	v_cmp_gt_i32_e32 vcc, 1, v7
	v_cndmask_b32_e32 v4, v8, v4, vcc
	v_and_b32_e32 v8, 7, v4
	v_cmp_lt_i32_e32 vcc, 5, v8
	v_cmp_eq_u32_e64 s[0:1], 3, v8
	v_lshrrev_b32_e32 v8, 2, v4
	v_cvt_f64_f32_e32 v[4:5], v5
	s_or_b64 vcc, s[0:1], vcc
	v_addc_co_u32_e32 v8, vcc, 0, v8, vcc
	v_mul_f64 v[4:5], v[4:5], s[14:15]
	v_cmp_gt_i32_e32 vcc, 31, v7
	v_cndmask_b32_e32 v8, v6, v8, vcc
	v_cmp_ne_u32_e32 vcc, 0, v0
	v_cndmask_b32_e64 v0, 0, 1, vcc
	v_lshl_or_b32 v0, v0, 9, v6
	v_cmp_eq_u32_e32 vcc, s16, v7
	v_cndmask_b32_e32 v0, v8, v0, vcc
	v_lshrrev_b32_e32 v1, 16, v1
	v_and_or_b32 v9, v1, s10, v0
	v_and_or_b32 v0, v5, s18, v4
	v_cmp_ne_u32_e32 vcc, 0, v0
	v_cndmask_b32_e64 v0, 0, 1, vcc
	v_lshrrev_b32_e32 v1, 8, v5
	v_and_or_b32 v4, v1, s17, v0
	v_bfe_u32 v1, v5, 20, 11
	v_sub_u32_e32 v7, 0x3f1, v1
	v_or_b32_e32 v0, 0x1000, v4
	v_med3_i32 v7, v7, 0, 13
	v_lshrrev_b32_e32 v8, v7, v0
	v_lshlrev_b32_e32 v7, v7, v8
	v_cmp_ne_u32_e32 vcc, v7, v0
	v_cndmask_b32_e64 v0, 0, 1, vcc
	v_add_u32_e32 v7, 0xfffffc10, v1
	v_or_b32_e32 v0, v8, v0
	v_lshl_or_b32 v1, v7, 12, v4
	v_cmp_gt_i32_e32 vcc, 1, v7
	v_cndmask_b32_e32 v0, v1, v0, vcc
	v_and_b32_e32 v1, 7, v0
	v_cmp_lt_i32_e32 vcc, 5, v1
	v_cmp_eq_u32_e64 s[0:1], 3, v1
	v_lshrrev_b32_e32 v0, 2, v0
	s_or_b64 vcc, s[0:1], vcc
	v_addc_co_u32_e32 v8, vcc, 0, v0, vcc
	v_add_u32_e32 v0, 0x800, v39
	ds_read2_b32 v[0:1], v0 offset0:118 offset1:188
	v_cmp_gt_i32_e32 vcc, 31, v7
	v_cndmask_b32_e32 v8, v6, v8, vcc
	v_cmp_ne_u32_e32 vcc, 0, v4
	v_cndmask_b32_e64 v4, 0, 1, vcc
	s_waitcnt lgkmcnt(0)
	v_lshrrev_b32_e32 v10, 16, v0
	s_waitcnt vmcnt(3)
	v_mul_f16_sdwa v14, v10, v11 dst_sel:DWORD dst_unused:UNUSED_PAD src0_sel:DWORD src1_sel:WORD_1
	v_fma_f16 v14, v0, v11, v14
	v_cvt_f32_f16_e32 v14, v14
	v_lshl_or_b32 v4, v4, 9, v6
	v_cmp_eq_u32_e32 vcc, s16, v7
	v_cndmask_b32_e32 v4, v8, v4, vcc
	v_cvt_f64_f32_e32 v[7:8], v14
	v_lshrrev_b32_e32 v5, 16, v5
	v_and_or_b32 v14, v5, s10, v4
	v_add_co_u32_e32 v2, vcc, s3, v2
	v_mul_f64 v[4:5], v[7:8], s[14:15]
	v_mov_b32_e32 v8, s2
	v_and_b32_e32 v9, 0xffff, v9
	v_addc_co_u32_e32 v3, vcc, v3, v8, vcc
	v_lshl_or_b32 v7, v14, 16, v9
	global_store_dword v[2:3], v7, off
	v_mul_f16_sdwa v0, v0, v11 dst_sel:DWORD dst_unused:UNUSED_PAD src0_sel:DWORD src1_sel:WORD_1
	v_and_or_b32 v4, v5, s18, v4
	v_cmp_ne_u32_e32 vcc, 0, v4
	v_cndmask_b32_e64 v4, 0, 1, vcc
	v_lshrrev_b32_e32 v7, 8, v5
	v_bfe_u32 v8, v5, 20, 11
	v_and_or_b32 v4, v7, s17, v4
	v_sub_u32_e32 v9, 0x3f1, v8
	v_or_b32_e32 v7, 0x1000, v4
	v_med3_i32 v9, v9, 0, 13
	v_lshrrev_b32_e32 v14, v9, v7
	v_lshlrev_b32_e32 v9, v9, v14
	v_cmp_ne_u32_e32 vcc, v9, v7
	v_fma_f16 v0, v11, v10, -v0
	v_cndmask_b32_e64 v7, 0, 1, vcc
	v_add_u32_e32 v9, 0xfffffc10, v8
	v_cvt_f32_f16_e32 v0, v0
	v_or_b32_e32 v7, v14, v7
	v_lshl_or_b32 v8, v9, 12, v4
	v_cmp_gt_i32_e32 vcc, 1, v9
	v_cndmask_b32_e32 v7, v8, v7, vcc
	v_and_b32_e32 v8, 7, v7
	v_cmp_lt_i32_e32 vcc, 5, v8
	v_cmp_eq_u32_e64 s[0:1], 3, v8
	v_lshrrev_b32_e32 v10, 2, v7
	v_cvt_f64_f32_e32 v[7:8], v0
	s_or_b64 vcc, s[0:1], vcc
	v_addc_co_u32_e32 v0, vcc, 0, v10, vcc
	v_mul_f64 v[7:8], v[7:8], s[14:15]
	v_cmp_gt_i32_e32 vcc, 31, v9
	v_cndmask_b32_e32 v0, v6, v0, vcc
	v_cmp_ne_u32_e32 vcc, 0, v4
	v_cndmask_b32_e64 v4, 0, 1, vcc
	v_lshl_or_b32 v4, v4, 9, v6
	v_cmp_eq_u32_e32 vcc, s16, v9
	v_cndmask_b32_e32 v0, v0, v4, vcc
	v_lshrrev_b32_e32 v4, 16, v5
	v_and_or_b32 v0, v4, s10, v0
	v_and_or_b32 v4, v8, s18, v7
	v_cmp_ne_u32_e32 vcc, 0, v4
	v_cndmask_b32_e64 v4, 0, 1, vcc
	v_lshrrev_b32_e32 v5, 8, v8
	v_bfe_u32 v7, v8, 20, 11
	v_and_or_b32 v4, v5, s17, v4
	v_sub_u32_e32 v9, 0x3f1, v7
	v_or_b32_e32 v5, 0x1000, v4
	v_med3_i32 v9, v9, 0, 13
	v_lshrrev_b32_e32 v10, v9, v5
	v_lshlrev_b32_e32 v9, v9, v10
	v_cmp_ne_u32_e32 vcc, v9, v5
	v_cndmask_b32_e64 v5, 0, 1, vcc
	v_add_u32_e32 v7, 0xfffffc10, v7
	v_or_b32_e32 v5, v10, v5
	v_lshl_or_b32 v9, v7, 12, v4
	v_cmp_gt_i32_e32 vcc, 1, v7
	v_cndmask_b32_e32 v5, v9, v5, vcc
	v_and_b32_e32 v9, 7, v5
	v_cmp_lt_i32_e32 vcc, 5, v9
	v_cmp_eq_u32_e64 s[0:1], 3, v9
	v_lshrrev_b32_e32 v9, 16, v1
	v_lshrrev_b32_e32 v5, 2, v5
	s_or_b64 vcc, s[0:1], vcc
	s_waitcnt vmcnt(3)
	v_mul_f16_sdwa v10, v9, v12 dst_sel:DWORD dst_unused:UNUSED_PAD src0_sel:DWORD src1_sel:WORD_1
	v_addc_co_u32_e32 v5, vcc, 0, v5, vcc
	v_fma_f16 v10, v1, v12, v10
	v_cmp_gt_i32_e32 vcc, 31, v7
	v_cvt_f32_f16_e32 v10, v10
	v_cndmask_b32_e32 v5, v6, v5, vcc
	v_cmp_ne_u32_e32 vcc, 0, v4
	v_cndmask_b32_e64 v4, 0, 1, vcc
	v_lshl_or_b32 v4, v4, 9, v6
	v_cmp_eq_u32_e32 vcc, s16, v7
	v_cndmask_b32_e32 v7, v5, v4, vcc
	v_cvt_f64_f32_e32 v[4:5], v10
	v_lshrrev_b32_e32 v8, 16, v8
	v_and_or_b32 v7, v8, s10, v7
	v_and_b32_e32 v0, 0xffff, v0
	v_mul_f64 v[4:5], v[4:5], s[14:15]
	v_lshl_or_b32 v0, v7, 16, v0
	v_mov_b32_e32 v7, s2
	v_add_co_u32_e32 v2, vcc, s3, v2
	v_addc_co_u32_e32 v3, vcc, v3, v7, vcc
	global_store_dword v[2:3], v0, off
	v_and_or_b32 v0, v5, s18, v4
	v_cmp_ne_u32_e32 vcc, 0, v0
	v_cndmask_b32_e64 v0, 0, 1, vcc
	v_lshrrev_b32_e32 v4, 8, v5
	v_bfe_u32 v7, v5, 20, 11
	v_and_or_b32 v4, v4, s17, v0
	v_sub_u32_e32 v8, 0x3f1, v7
	v_or_b32_e32 v0, 0x1000, v4
	v_med3_i32 v8, v8, 0, 13
	v_lshrrev_b32_e32 v10, v8, v0
	v_lshlrev_b32_e32 v8, v8, v10
	v_mul_f16_sdwa v1, v1, v12 dst_sel:DWORD dst_unused:UNUSED_PAD src0_sel:DWORD src1_sel:WORD_1
	v_cmp_ne_u32_e32 vcc, v8, v0
	v_fma_f16 v1, v12, v9, -v1
	v_cndmask_b32_e64 v0, 0, 1, vcc
	v_add_u32_e32 v7, 0xfffffc10, v7
	v_cvt_f32_f16_e32 v1, v1
	v_or_b32_e32 v0, v10, v0
	v_lshl_or_b32 v8, v7, 12, v4
	v_cmp_gt_i32_e32 vcc, 1, v7
	v_cndmask_b32_e32 v0, v8, v0, vcc
	v_and_b32_e32 v8, 7, v0
	v_cmp_lt_i32_e32 vcc, 5, v8
	v_cmp_eq_u32_e64 s[0:1], 3, v8
	v_lshrrev_b32_e32 v8, 2, v0
	v_cvt_f64_f32_e32 v[0:1], v1
	s_or_b64 vcc, s[0:1], vcc
	v_addc_co_u32_e32 v8, vcc, 0, v8, vcc
	v_mul_f64 v[0:1], v[0:1], s[14:15]
	v_cmp_gt_i32_e32 vcc, 31, v7
	v_cndmask_b32_e32 v8, v6, v8, vcc
	v_cmp_ne_u32_e32 vcc, 0, v4
	v_cndmask_b32_e64 v4, 0, 1, vcc
	v_lshl_or_b32 v4, v4, 9, v6
	v_cmp_eq_u32_e32 vcc, s16, v7
	v_cndmask_b32_e32 v4, v8, v4, vcc
	v_and_or_b32 v0, v1, s18, v0
	v_lshrrev_b32_e32 v5, 16, v5
	v_cmp_ne_u32_e32 vcc, 0, v0
	v_and_or_b32 v9, v5, s10, v4
	v_cndmask_b32_e64 v0, 0, 1, vcc
	v_lshrrev_b32_e32 v4, 8, v1
	v_bfe_u32 v5, v1, 20, 11
	v_and_or_b32 v0, v4, s17, v0
	v_sub_u32_e32 v7, 0x3f1, v5
	v_or_b32_e32 v4, 0x1000, v0
	v_med3_i32 v7, v7, 0, 13
	v_lshrrev_b32_e32 v8, v7, v4
	v_lshlrev_b32_e32 v7, v7, v8
	v_cmp_ne_u32_e32 vcc, v7, v4
	v_cndmask_b32_e64 v4, 0, 1, vcc
	v_add_u32_e32 v7, 0xfffffc10, v5
	v_or_b32_e32 v4, v8, v4
	v_lshl_or_b32 v5, v7, 12, v0
	v_cmp_gt_i32_e32 vcc, 1, v7
	v_cndmask_b32_e32 v4, v5, v4, vcc
	v_and_b32_e32 v5, 7, v4
	v_cmp_lt_i32_e32 vcc, 5, v5
	v_cmp_eq_u32_e64 s[0:1], 3, v5
	v_lshrrev_b32_e32 v4, 2, v4
	s_or_b64 vcc, s[0:1], vcc
	v_addc_co_u32_e32 v8, vcc, 0, v4, vcc
	v_add_u32_e32 v4, 0xc00, v39
	ds_read2_b32 v[4:5], v4 offset0:2 offset1:72
	v_cmp_gt_i32_e32 vcc, 31, v7
	v_cndmask_b32_e32 v8, v6, v8, vcc
	v_cmp_ne_u32_e32 vcc, 0, v0
	v_cndmask_b32_e64 v0, 0, 1, vcc
	s_waitcnt lgkmcnt(0)
	v_lshrrev_b32_e32 v10, 16, v4
	s_waitcnt vmcnt(3)
	v_mul_f16_sdwa v11, v10, v13 dst_sel:DWORD dst_unused:UNUSED_PAD src0_sel:DWORD src1_sel:WORD_1
	v_fma_f16 v11, v4, v13, v11
	v_cvt_f32_f16_e32 v11, v11
	v_lshl_or_b32 v0, v0, 9, v6
	v_cmp_eq_u32_e32 vcc, s16, v7
	v_cndmask_b32_e32 v0, v8, v0, vcc
	v_cvt_f64_f32_e32 v[7:8], v11
	v_lshrrev_b32_e32 v1, 16, v1
	v_and_or_b32 v11, v1, s10, v0
	v_add_co_u32_e32 v2, vcc, s3, v2
	v_mul_f64 v[0:1], v[7:8], s[14:15]
	v_mov_b32_e32 v8, s2
	v_and_b32_e32 v9, 0xffff, v9
	v_addc_co_u32_e32 v3, vcc, v3, v8, vcc
	v_lshl_or_b32 v7, v11, 16, v9
	global_store_dword v[2:3], v7, off
	v_mul_f16_sdwa v4, v4, v13 dst_sel:DWORD dst_unused:UNUSED_PAD src0_sel:DWORD src1_sel:WORD_1
	v_and_or_b32 v0, v1, s18, v0
	v_cmp_ne_u32_e32 vcc, 0, v0
	v_cndmask_b32_e64 v0, 0, 1, vcc
	v_lshrrev_b32_e32 v7, 8, v1
	v_bfe_u32 v8, v1, 20, 11
	v_and_or_b32 v0, v7, s17, v0
	v_sub_u32_e32 v9, 0x3f1, v8
	v_or_b32_e32 v7, 0x1000, v0
	v_med3_i32 v9, v9, 0, 13
	v_lshrrev_b32_e32 v11, v9, v7
	v_lshlrev_b32_e32 v9, v9, v11
	v_cmp_ne_u32_e32 vcc, v9, v7
	v_fma_f16 v4, v13, v10, -v4
	v_cndmask_b32_e64 v7, 0, 1, vcc
	v_add_u32_e32 v9, 0xfffffc10, v8
	v_cvt_f32_f16_e32 v4, v4
	v_or_b32_e32 v7, v11, v7
	v_lshl_or_b32 v8, v9, 12, v0
	v_cmp_gt_i32_e32 vcc, 1, v9
	v_cndmask_b32_e32 v7, v8, v7, vcc
	v_and_b32_e32 v8, 7, v7
	v_cmp_lt_i32_e32 vcc, 5, v8
	v_cmp_eq_u32_e64 s[0:1], 3, v8
	v_lshrrev_b32_e32 v10, 2, v7
	v_cvt_f64_f32_e32 v[7:8], v4
	s_or_b64 vcc, s[0:1], vcc
	v_addc_co_u32_e32 v4, vcc, 0, v10, vcc
	v_mul_f64 v[7:8], v[7:8], s[14:15]
	v_cmp_gt_i32_e32 vcc, 31, v9
	v_cndmask_b32_e32 v4, v6, v4, vcc
	v_cmp_ne_u32_e32 vcc, 0, v0
	v_cndmask_b32_e64 v0, 0, 1, vcc
	v_lshl_or_b32 v0, v0, 9, v6
	v_cmp_eq_u32_e32 vcc, s16, v9
	v_cndmask_b32_e32 v0, v4, v0, vcc
	v_lshrrev_b32_e32 v1, 16, v1
	v_and_or_b32 v0, v1, s10, v0
	v_and_or_b32 v1, v8, s18, v7
	v_cmp_ne_u32_e32 vcc, 0, v1
	v_cndmask_b32_e64 v1, 0, 1, vcc
	v_lshrrev_b32_e32 v4, 8, v8
	v_bfe_u32 v7, v8, 20, 11
	v_and_or_b32 v1, v4, s17, v1
	v_sub_u32_e32 v9, 0x3f1, v7
	v_or_b32_e32 v4, 0x1000, v1
	v_med3_i32 v9, v9, 0, 13
	v_lshrrev_b32_e32 v10, v9, v4
	v_lshlrev_b32_e32 v9, v9, v10
	v_cmp_ne_u32_e32 vcc, v9, v4
	v_cndmask_b32_e64 v4, 0, 1, vcc
	v_add_u32_e32 v7, 0xfffffc10, v7
	v_or_b32_e32 v4, v10, v4
	v_lshl_or_b32 v9, v7, 12, v1
	v_cmp_gt_i32_e32 vcc, 1, v7
	v_cndmask_b32_e32 v4, v9, v4, vcc
	v_and_b32_e32 v9, 7, v4
	v_cmp_lt_i32_e32 vcc, 5, v9
	v_cmp_eq_u32_e64 s[0:1], 3, v9
	v_lshrrev_b32_e32 v4, 2, v4
	s_or_b64 vcc, s[0:1], vcc
	v_addc_co_u32_e32 v4, vcc, 0, v4, vcc
	v_cmp_gt_i32_e32 vcc, 31, v7
	v_cndmask_b32_e32 v4, v6, v4, vcc
	v_cmp_ne_u32_e32 vcc, 0, v1
	v_cndmask_b32_e64 v1, 0, 1, vcc
	v_lshl_or_b32 v1, v1, 9, v6
	v_cmp_eq_u32_e32 vcc, s16, v7
	v_cndmask_b32_e32 v1, v4, v1, vcc
	v_lshrrev_b32_e32 v4, 16, v8
	v_and_or_b32 v1, v4, s10, v1
	v_and_b32_e32 v0, 0xffff, v0
	v_lshl_or_b32 v4, v1, 16, v0
	v_mov_b32_e32 v1, s2
	v_add_co_u32_e32 v0, vcc, s3, v2
	v_addc_co_u32_e32 v1, vcc, v3, v1, vcc
	global_store_dword v[0:1], v4, off
	global_load_dword v4, v37, s[6:7] offset:3360
	v_lshrrev_b32_e32 v7, 16, v5
	s_waitcnt vmcnt(0)
	v_mul_f16_sdwa v2, v7, v4 dst_sel:DWORD dst_unused:UNUSED_PAD src0_sel:DWORD src1_sel:WORD_1
	v_fma_f16 v2, v5, v4, v2
	v_cvt_f32_f16_e32 v2, v2
	v_mul_f16_sdwa v5, v5, v4 dst_sel:DWORD dst_unused:UNUSED_PAD src0_sel:DWORD src1_sel:WORD_1
	v_fma_f16 v4, v4, v7, -v5
	v_cvt_f32_f16_e32 v4, v4
	v_cvt_f64_f32_e32 v[2:3], v2
	v_cvt_f64_f32_e32 v[4:5], v4
	v_mul_f64 v[2:3], v[2:3], s[14:15]
	v_mul_f64 v[4:5], v[4:5], s[14:15]
	v_and_or_b32 v2, v3, s18, v2
	v_cmp_ne_u32_e32 vcc, 0, v2
	v_cndmask_b32_e64 v2, 0, 1, vcc
	v_lshrrev_b32_e32 v8, 8, v3
	v_bfe_u32 v9, v3, 20, 11
	v_and_or_b32 v2, v8, s17, v2
	v_sub_u32_e32 v10, 0x3f1, v9
	v_or_b32_e32 v8, 0x1000, v2
	v_med3_i32 v10, v10, 0, 13
	v_lshrrev_b32_e32 v11, v10, v8
	v_lshlrev_b32_e32 v10, v10, v11
	v_cmp_ne_u32_e32 vcc, v10, v8
	v_cndmask_b32_e64 v8, 0, 1, vcc
	v_add_u32_e32 v9, 0xfffffc10, v9
	v_or_b32_e32 v8, v11, v8
	v_lshl_or_b32 v10, v9, 12, v2
	v_cmp_gt_i32_e32 vcc, 1, v9
	v_cndmask_b32_e32 v8, v10, v8, vcc
	v_and_b32_e32 v10, 7, v8
	v_cmp_lt_i32_e32 vcc, 5, v10
	v_cmp_eq_u32_e64 s[0:1], 3, v10
	v_lshrrev_b32_e32 v7, 2, v8
	s_or_b64 vcc, s[0:1], vcc
	v_addc_co_u32_e32 v7, vcc, 0, v7, vcc
	v_cmp_gt_i32_e32 vcc, 31, v9
	v_cndmask_b32_e32 v7, v6, v7, vcc
	v_cmp_ne_u32_e32 vcc, 0, v2
	v_cndmask_b32_e64 v2, 0, 1, vcc
	v_lshl_or_b32 v2, v2, 9, v6
	v_cmp_eq_u32_e32 vcc, s16, v9
	v_cndmask_b32_e32 v2, v7, v2, vcc
	v_lshrrev_b32_e32 v3, 16, v3
	v_and_or_b32 v2, v3, s10, v2
	v_and_or_b32 v3, v5, s18, v4
	v_cmp_ne_u32_e32 vcc, 0, v3
	v_cndmask_b32_e64 v3, 0, 1, vcc
	v_lshrrev_b32_e32 v4, 8, v5
	v_bfe_u32 v7, v5, 20, 11
	v_and_or_b32 v3, v4, s17, v3
	v_sub_u32_e32 v8, 0x3f1, v7
	v_or_b32_e32 v4, 0x1000, v3
	v_med3_i32 v8, v8, 0, 13
	v_lshrrev_b32_e32 v9, v8, v4
	v_lshlrev_b32_e32 v8, v8, v9
	v_cmp_ne_u32_e32 vcc, v8, v4
	v_cndmask_b32_e64 v4, 0, 1, vcc
	v_add_u32_e32 v7, 0xfffffc10, v7
	v_or_b32_e32 v4, v9, v4
	v_lshl_or_b32 v8, v7, 12, v3
	v_cmp_gt_i32_e32 vcc, 1, v7
	v_cndmask_b32_e32 v4, v8, v4, vcc
	v_and_b32_e32 v8, 7, v4
	v_cmp_lt_i32_e32 vcc, 5, v8
	v_cmp_eq_u32_e64 s[0:1], 3, v8
	v_lshrrev_b32_e32 v4, 2, v4
	s_or_b64 vcc, s[0:1], vcc
	v_addc_co_u32_e32 v4, vcc, 0, v4, vcc
	v_cmp_gt_i32_e32 vcc, 31, v7
	v_cndmask_b32_e32 v4, v6, v4, vcc
	v_cmp_ne_u32_e32 vcc, 0, v3
	v_cndmask_b32_e64 v3, 0, 1, vcc
	v_lshl_or_b32 v3, v3, 9, v6
	v_cmp_eq_u32_e32 vcc, s16, v7
	v_cndmask_b32_e32 v3, v4, v3, vcc
	v_lshrrev_b32_e32 v4, 16, v5
	v_and_or_b32 v3, v4, s10, v3
	v_and_b32_e32 v2, 0xffff, v2
	v_lshl_or_b32 v2, v3, 16, v2
	v_mov_b32_e32 v3, s2
	v_add_co_u32_e32 v0, vcc, s3, v0
	v_addc_co_u32_e32 v1, vcc, v1, v3, vcc
	global_store_dword v[0:1], v2, off
.LBB0_23:
	s_endpgm
	.section	.rodata,"a",@progbits
	.p2align	6, 0x0
	.amdhsa_kernel bluestein_single_back_len910_dim1_half_op_CI_CI
		.amdhsa_group_segment_fixed_size 7280
		.amdhsa_private_segment_fixed_size 0
		.amdhsa_kernarg_size 104
		.amdhsa_user_sgpr_count 6
		.amdhsa_user_sgpr_private_segment_buffer 1
		.amdhsa_user_sgpr_dispatch_ptr 0
		.amdhsa_user_sgpr_queue_ptr 0
		.amdhsa_user_sgpr_kernarg_segment_ptr 1
		.amdhsa_user_sgpr_dispatch_id 0
		.amdhsa_user_sgpr_flat_scratch_init 0
		.amdhsa_user_sgpr_private_segment_size 0
		.amdhsa_uses_dynamic_stack 0
		.amdhsa_system_sgpr_private_segment_wavefront_offset 0
		.amdhsa_system_sgpr_workgroup_id_x 1
		.amdhsa_system_sgpr_workgroup_id_y 0
		.amdhsa_system_sgpr_workgroup_id_z 0
		.amdhsa_system_sgpr_workgroup_info 0
		.amdhsa_system_vgpr_workitem_id 0
		.amdhsa_next_free_vgpr 201
		.amdhsa_next_free_sgpr 37
		.amdhsa_reserve_vcc 1
		.amdhsa_reserve_flat_scratch 0
		.amdhsa_float_round_mode_32 0
		.amdhsa_float_round_mode_16_64 0
		.amdhsa_float_denorm_mode_32 3
		.amdhsa_float_denorm_mode_16_64 3
		.amdhsa_dx10_clamp 1
		.amdhsa_ieee_mode 1
		.amdhsa_fp16_overflow 0
		.amdhsa_exception_fp_ieee_invalid_op 0
		.amdhsa_exception_fp_denorm_src 0
		.amdhsa_exception_fp_ieee_div_zero 0
		.amdhsa_exception_fp_ieee_overflow 0
		.amdhsa_exception_fp_ieee_underflow 0
		.amdhsa_exception_fp_ieee_inexact 0
		.amdhsa_exception_int_div_zero 0
	.end_amdhsa_kernel
	.text
.Lfunc_end0:
	.size	bluestein_single_back_len910_dim1_half_op_CI_CI, .Lfunc_end0-bluestein_single_back_len910_dim1_half_op_CI_CI
                                        ; -- End function
	.section	.AMDGPU.csdata,"",@progbits
; Kernel info:
; codeLenInByte = 22528
; NumSgprs: 41
; NumVgprs: 201
; ScratchSize: 0
; MemoryBound: 0
; FloatMode: 240
; IeeeMode: 1
; LDSByteSize: 7280 bytes/workgroup (compile time only)
; SGPRBlocks: 5
; VGPRBlocks: 50
; NumSGPRsForWavesPerEU: 41
; NumVGPRsForWavesPerEU: 201
; Occupancy: 1
; WaveLimiterHint : 1
; COMPUTE_PGM_RSRC2:SCRATCH_EN: 0
; COMPUTE_PGM_RSRC2:USER_SGPR: 6
; COMPUTE_PGM_RSRC2:TRAP_HANDLER: 0
; COMPUTE_PGM_RSRC2:TGID_X_EN: 1
; COMPUTE_PGM_RSRC2:TGID_Y_EN: 0
; COMPUTE_PGM_RSRC2:TGID_Z_EN: 0
; COMPUTE_PGM_RSRC2:TIDIG_COMP_CNT: 0
	.type	__hip_cuid_9f01f2c8b89e0a53,@object ; @__hip_cuid_9f01f2c8b89e0a53
	.section	.bss,"aw",@nobits
	.globl	__hip_cuid_9f01f2c8b89e0a53
__hip_cuid_9f01f2c8b89e0a53:
	.byte	0                               ; 0x0
	.size	__hip_cuid_9f01f2c8b89e0a53, 1

	.ident	"AMD clang version 19.0.0git (https://github.com/RadeonOpenCompute/llvm-project roc-6.4.0 25133 c7fe45cf4b819c5991fe208aaa96edf142730f1d)"
	.section	".note.GNU-stack","",@progbits
	.addrsig
	.addrsig_sym __hip_cuid_9f01f2c8b89e0a53
	.amdgpu_metadata
---
amdhsa.kernels:
  - .args:
      - .actual_access:  read_only
        .address_space:  global
        .offset:         0
        .size:           8
        .value_kind:     global_buffer
      - .actual_access:  read_only
        .address_space:  global
        .offset:         8
        .size:           8
        .value_kind:     global_buffer
      - .actual_access:  read_only
        .address_space:  global
        .offset:         16
        .size:           8
        .value_kind:     global_buffer
      - .actual_access:  read_only
        .address_space:  global
        .offset:         24
        .size:           8
        .value_kind:     global_buffer
      - .actual_access:  read_only
        .address_space:  global
        .offset:         32
        .size:           8
        .value_kind:     global_buffer
      - .offset:         40
        .size:           8
        .value_kind:     by_value
      - .address_space:  global
        .offset:         48
        .size:           8
        .value_kind:     global_buffer
      - .address_space:  global
        .offset:         56
        .size:           8
        .value_kind:     global_buffer
      - .address_space:  global
        .offset:         64
        .size:           8
        .value_kind:     global_buffer
      - .address_space:  global
        .offset:         72
        .size:           8
        .value_kind:     global_buffer
      - .offset:         80
        .size:           4
        .value_kind:     by_value
      - .address_space:  global
        .offset:         88
        .size:           8
        .value_kind:     global_buffer
      - .address_space:  global
        .offset:         96
        .size:           8
        .value_kind:     global_buffer
    .group_segment_fixed_size: 7280
    .kernarg_segment_align: 8
    .kernarg_segment_size: 104
    .language:       OpenCL C
    .language_version:
      - 2
      - 0
    .max_flat_workgroup_size: 182
    .name:           bluestein_single_back_len910_dim1_half_op_CI_CI
    .private_segment_fixed_size: 0
    .sgpr_count:     41
    .sgpr_spill_count: 0
    .symbol:         bluestein_single_back_len910_dim1_half_op_CI_CI.kd
    .uniform_work_group_size: 1
    .uses_dynamic_stack: false
    .vgpr_count:     201
    .vgpr_spill_count: 0
    .wavefront_size: 64
amdhsa.target:   amdgcn-amd-amdhsa--gfx906
amdhsa.version:
  - 1
  - 2
...

	.end_amdgpu_metadata
